;; amdgpu-corpus repo=ROCm/rocFFT kind=compiled arch=gfx1201 opt=O3
	.text
	.amdgcn_target "amdgcn-amd-amdhsa--gfx1201"
	.amdhsa_code_object_version 6
	.protected	fft_rtc_fwd_len1008_factors_2_2_2_2_3_3_7_wgs_56_tpt_56_halfLds_dp_ip_CI_unitstride_sbrr_R2C_dirReg ; -- Begin function fft_rtc_fwd_len1008_factors_2_2_2_2_3_3_7_wgs_56_tpt_56_halfLds_dp_ip_CI_unitstride_sbrr_R2C_dirReg
	.globl	fft_rtc_fwd_len1008_factors_2_2_2_2_3_3_7_wgs_56_tpt_56_halfLds_dp_ip_CI_unitstride_sbrr_R2C_dirReg
	.p2align	8
	.type	fft_rtc_fwd_len1008_factors_2_2_2_2_3_3_7_wgs_56_tpt_56_halfLds_dp_ip_CI_unitstride_sbrr_R2C_dirReg,@function
fft_rtc_fwd_len1008_factors_2_2_2_2_3_3_7_wgs_56_tpt_56_halfLds_dp_ip_CI_unitstride_sbrr_R2C_dirReg: ; @fft_rtc_fwd_len1008_factors_2_2_2_2_3_3_7_wgs_56_tpt_56_halfLds_dp_ip_CI_unitstride_sbrr_R2C_dirReg
; %bb.0:
	s_clause 0x2
	s_load_b128 s[4:7], s[0:1], 0x0
	s_load_b64 s[8:9], s[0:1], 0x50
	s_load_b64 s[10:11], s[0:1], 0x18
	v_mul_u32_u24_e32 v1, 0x493, v0
	v_mov_b32_e32 v3, 0
	s_delay_alu instid0(VALU_DEP_2) | instskip(NEXT) | instid1(VALU_DEP_1)
	v_lshrrev_b32_e32 v1, 16, v1
	v_add_nc_u32_e32 v5, ttmp9, v1
	v_mov_b32_e32 v1, 0
	v_mov_b32_e32 v2, 0
	;; [unrolled: 1-line block ×3, first 2 shown]
	s_wait_kmcnt 0x0
	v_cmp_lt_u64_e64 s2, s[6:7], 2
	s_delay_alu instid0(VALU_DEP_1)
	s_and_b32 vcc_lo, exec_lo, s2
	s_cbranch_vccnz .LBB0_8
; %bb.1:
	s_load_b64 s[2:3], s[0:1], 0x10
	v_mov_b32_e32 v1, 0
	v_mov_b32_e32 v2, 0
	s_add_nc_u64 s[12:13], s[10:11], 8
	s_mov_b64 s[14:15], 1
	s_wait_kmcnt 0x0
	s_add_nc_u64 s[16:17], s[2:3], 8
	s_mov_b32 s3, 0
.LBB0_2:                                ; =>This Inner Loop Header: Depth=1
	s_load_b64 s[18:19], s[16:17], 0x0
                                        ; implicit-def: $vgpr7_vgpr8
	s_mov_b32 s2, exec_lo
	s_wait_kmcnt 0x0
	v_or_b32_e32 v4, s19, v6
	s_delay_alu instid0(VALU_DEP_1)
	v_cmpx_ne_u64_e32 0, v[3:4]
	s_wait_alu 0xfffe
	s_xor_b32 s20, exec_lo, s2
	s_cbranch_execz .LBB0_4
; %bb.3:                                ;   in Loop: Header=BB0_2 Depth=1
	s_cvt_f32_u32 s2, s18
	s_cvt_f32_u32 s21, s19
	s_sub_nc_u64 s[24:25], 0, s[18:19]
	s_wait_alu 0xfffe
	s_delay_alu instid0(SALU_CYCLE_1) | instskip(SKIP_1) | instid1(SALU_CYCLE_2)
	s_fmamk_f32 s2, s21, 0x4f800000, s2
	s_wait_alu 0xfffe
	v_s_rcp_f32 s2, s2
	s_delay_alu instid0(TRANS32_DEP_1) | instskip(SKIP_1) | instid1(SALU_CYCLE_2)
	s_mul_f32 s2, s2, 0x5f7ffffc
	s_wait_alu 0xfffe
	s_mul_f32 s21, s2, 0x2f800000
	s_wait_alu 0xfffe
	s_delay_alu instid0(SALU_CYCLE_2) | instskip(SKIP_1) | instid1(SALU_CYCLE_2)
	s_trunc_f32 s21, s21
	s_wait_alu 0xfffe
	s_fmamk_f32 s2, s21, 0xcf800000, s2
	s_cvt_u32_f32 s23, s21
	s_wait_alu 0xfffe
	s_delay_alu instid0(SALU_CYCLE_1) | instskip(SKIP_1) | instid1(SALU_CYCLE_2)
	s_cvt_u32_f32 s22, s2
	s_wait_alu 0xfffe
	s_mul_u64 s[26:27], s[24:25], s[22:23]
	s_wait_alu 0xfffe
	s_mul_hi_u32 s29, s22, s27
	s_mul_i32 s28, s22, s27
	s_mul_hi_u32 s2, s22, s26
	s_mul_i32 s30, s23, s26
	s_wait_alu 0xfffe
	s_add_nc_u64 s[28:29], s[2:3], s[28:29]
	s_mul_hi_u32 s21, s23, s26
	s_mul_hi_u32 s31, s23, s27
	s_add_co_u32 s2, s28, s30
	s_wait_alu 0xfffe
	s_add_co_ci_u32 s2, s29, s21
	s_mul_i32 s26, s23, s27
	s_add_co_ci_u32 s27, s31, 0
	s_wait_alu 0xfffe
	s_add_nc_u64 s[26:27], s[2:3], s[26:27]
	s_wait_alu 0xfffe
	v_add_co_u32 v4, s2, s22, s26
	s_delay_alu instid0(VALU_DEP_1) | instskip(SKIP_1) | instid1(VALU_DEP_1)
	s_cmp_lg_u32 s2, 0
	s_add_co_ci_u32 s23, s23, s27
	v_readfirstlane_b32 s22, v4
	s_wait_alu 0xfffe
	s_delay_alu instid0(VALU_DEP_1)
	s_mul_u64 s[24:25], s[24:25], s[22:23]
	s_wait_alu 0xfffe
	s_mul_hi_u32 s27, s22, s25
	s_mul_i32 s26, s22, s25
	s_mul_hi_u32 s2, s22, s24
	s_mul_i32 s28, s23, s24
	s_wait_alu 0xfffe
	s_add_nc_u64 s[26:27], s[2:3], s[26:27]
	s_mul_hi_u32 s21, s23, s24
	s_mul_hi_u32 s22, s23, s25
	s_wait_alu 0xfffe
	s_add_co_u32 s2, s26, s28
	s_add_co_ci_u32 s2, s27, s21
	s_mul_i32 s24, s23, s25
	s_add_co_ci_u32 s25, s22, 0
	s_wait_alu 0xfffe
	s_add_nc_u64 s[24:25], s[2:3], s[24:25]
	s_wait_alu 0xfffe
	v_add_co_u32 v4, s2, v4, s24
	s_delay_alu instid0(VALU_DEP_1) | instskip(SKIP_1) | instid1(VALU_DEP_1)
	s_cmp_lg_u32 s2, 0
	s_add_co_ci_u32 s2, s23, s25
	v_mul_hi_u32 v13, v5, v4
	s_wait_alu 0xfffe
	v_mad_co_u64_u32 v[7:8], null, v5, s2, 0
	v_mad_co_u64_u32 v[9:10], null, v6, v4, 0
	;; [unrolled: 1-line block ×3, first 2 shown]
	s_delay_alu instid0(VALU_DEP_3) | instskip(SKIP_1) | instid1(VALU_DEP_4)
	v_add_co_u32 v4, vcc_lo, v13, v7
	s_wait_alu 0xfffd
	v_add_co_ci_u32_e32 v7, vcc_lo, 0, v8, vcc_lo
	s_delay_alu instid0(VALU_DEP_2) | instskip(SKIP_1) | instid1(VALU_DEP_2)
	v_add_co_u32 v4, vcc_lo, v4, v9
	s_wait_alu 0xfffd
	v_add_co_ci_u32_e32 v4, vcc_lo, v7, v10, vcc_lo
	s_wait_alu 0xfffd
	v_add_co_ci_u32_e32 v7, vcc_lo, 0, v12, vcc_lo
	s_delay_alu instid0(VALU_DEP_2) | instskip(SKIP_1) | instid1(VALU_DEP_2)
	v_add_co_u32 v4, vcc_lo, v4, v11
	s_wait_alu 0xfffd
	v_add_co_ci_u32_e32 v9, vcc_lo, 0, v7, vcc_lo
	s_delay_alu instid0(VALU_DEP_2) | instskip(SKIP_1) | instid1(VALU_DEP_3)
	v_mul_lo_u32 v10, s19, v4
	v_mad_co_u64_u32 v[7:8], null, s18, v4, 0
	v_mul_lo_u32 v11, s18, v9
	s_delay_alu instid0(VALU_DEP_2) | instskip(NEXT) | instid1(VALU_DEP_2)
	v_sub_co_u32 v7, vcc_lo, v5, v7
	v_add3_u32 v8, v8, v11, v10
	s_delay_alu instid0(VALU_DEP_1) | instskip(SKIP_1) | instid1(VALU_DEP_1)
	v_sub_nc_u32_e32 v10, v6, v8
	s_wait_alu 0xfffd
	v_subrev_co_ci_u32_e64 v10, s2, s19, v10, vcc_lo
	v_add_co_u32 v11, s2, v4, 2
	s_wait_alu 0xf1ff
	v_add_co_ci_u32_e64 v12, s2, 0, v9, s2
	v_sub_co_u32 v13, s2, v7, s18
	v_sub_co_ci_u32_e32 v8, vcc_lo, v6, v8, vcc_lo
	s_wait_alu 0xf1ff
	v_subrev_co_ci_u32_e64 v10, s2, 0, v10, s2
	s_delay_alu instid0(VALU_DEP_3) | instskip(NEXT) | instid1(VALU_DEP_3)
	v_cmp_le_u32_e32 vcc_lo, s18, v13
	v_cmp_eq_u32_e64 s2, s19, v8
	s_wait_alu 0xfffd
	v_cndmask_b32_e64 v13, 0, -1, vcc_lo
	v_cmp_le_u32_e32 vcc_lo, s19, v10
	s_wait_alu 0xfffd
	v_cndmask_b32_e64 v14, 0, -1, vcc_lo
	v_cmp_le_u32_e32 vcc_lo, s18, v7
	;; [unrolled: 3-line block ×3, first 2 shown]
	s_wait_alu 0xfffd
	v_cndmask_b32_e64 v15, 0, -1, vcc_lo
	v_cmp_eq_u32_e32 vcc_lo, s19, v10
	s_wait_alu 0xf1ff
	s_delay_alu instid0(VALU_DEP_2)
	v_cndmask_b32_e64 v7, v15, v7, s2
	s_wait_alu 0xfffd
	v_cndmask_b32_e32 v10, v14, v13, vcc_lo
	v_add_co_u32 v13, vcc_lo, v4, 1
	s_wait_alu 0xfffd
	v_add_co_ci_u32_e32 v14, vcc_lo, 0, v9, vcc_lo
	s_delay_alu instid0(VALU_DEP_3) | instskip(SKIP_2) | instid1(VALU_DEP_3)
	v_cmp_ne_u32_e32 vcc_lo, 0, v10
	s_wait_alu 0xfffd
	v_cndmask_b32_e32 v10, v13, v11, vcc_lo
	v_cndmask_b32_e32 v8, v14, v12, vcc_lo
	v_cmp_ne_u32_e32 vcc_lo, 0, v7
	s_wait_alu 0xfffd
	s_delay_alu instid0(VALU_DEP_2)
	v_dual_cndmask_b32 v7, v4, v10 :: v_dual_cndmask_b32 v8, v9, v8
.LBB0_4:                                ;   in Loop: Header=BB0_2 Depth=1
	s_wait_alu 0xfffe
	s_and_not1_saveexec_b32 s2, s20
	s_cbranch_execz .LBB0_6
; %bb.5:                                ;   in Loop: Header=BB0_2 Depth=1
	v_cvt_f32_u32_e32 v4, s18
	s_sub_co_i32 s20, 0, s18
	s_delay_alu instid0(VALU_DEP_1) | instskip(NEXT) | instid1(TRANS32_DEP_1)
	v_rcp_iflag_f32_e32 v4, v4
	v_mul_f32_e32 v4, 0x4f7ffffe, v4
	s_delay_alu instid0(VALU_DEP_1) | instskip(SKIP_1) | instid1(VALU_DEP_1)
	v_cvt_u32_f32_e32 v4, v4
	s_wait_alu 0xfffe
	v_mul_lo_u32 v7, s20, v4
	s_delay_alu instid0(VALU_DEP_1) | instskip(NEXT) | instid1(VALU_DEP_1)
	v_mul_hi_u32 v7, v4, v7
	v_add_nc_u32_e32 v4, v4, v7
	s_delay_alu instid0(VALU_DEP_1) | instskip(NEXT) | instid1(VALU_DEP_1)
	v_mul_hi_u32 v4, v5, v4
	v_mul_lo_u32 v7, v4, s18
	v_add_nc_u32_e32 v8, 1, v4
	s_delay_alu instid0(VALU_DEP_2) | instskip(NEXT) | instid1(VALU_DEP_1)
	v_sub_nc_u32_e32 v7, v5, v7
	v_subrev_nc_u32_e32 v9, s18, v7
	v_cmp_le_u32_e32 vcc_lo, s18, v7
	s_wait_alu 0xfffd
	s_delay_alu instid0(VALU_DEP_2) | instskip(NEXT) | instid1(VALU_DEP_1)
	v_dual_cndmask_b32 v7, v7, v9 :: v_dual_cndmask_b32 v4, v4, v8
	v_cmp_le_u32_e32 vcc_lo, s18, v7
	s_delay_alu instid0(VALU_DEP_2) | instskip(SKIP_1) | instid1(VALU_DEP_1)
	v_add_nc_u32_e32 v8, 1, v4
	s_wait_alu 0xfffd
	v_dual_cndmask_b32 v7, v4, v8 :: v_dual_mov_b32 v8, v3
.LBB0_6:                                ;   in Loop: Header=BB0_2 Depth=1
	s_wait_alu 0xfffe
	s_or_b32 exec_lo, exec_lo, s2
	s_load_b64 s[20:21], s[12:13], 0x0
	s_delay_alu instid0(VALU_DEP_1)
	v_mul_lo_u32 v4, v8, s18
	v_mul_lo_u32 v11, v7, s19
	v_mad_co_u64_u32 v[9:10], null, v7, s18, 0
	s_add_nc_u64 s[14:15], s[14:15], 1
	s_add_nc_u64 s[12:13], s[12:13], 8
	s_wait_alu 0xfffe
	v_cmp_ge_u64_e64 s2, s[14:15], s[6:7]
	s_add_nc_u64 s[16:17], s[16:17], 8
	s_delay_alu instid0(VALU_DEP_2) | instskip(NEXT) | instid1(VALU_DEP_3)
	v_add3_u32 v4, v10, v11, v4
	v_sub_co_u32 v5, vcc_lo, v5, v9
	s_wait_alu 0xfffd
	s_delay_alu instid0(VALU_DEP_2) | instskip(SKIP_3) | instid1(VALU_DEP_2)
	v_sub_co_ci_u32_e32 v4, vcc_lo, v6, v4, vcc_lo
	s_and_b32 vcc_lo, exec_lo, s2
	s_wait_kmcnt 0x0
	v_mul_lo_u32 v6, s21, v5
	v_mul_lo_u32 v4, s20, v4
	v_mad_co_u64_u32 v[1:2], null, s20, v5, v[1:2]
	s_delay_alu instid0(VALU_DEP_1)
	v_add3_u32 v2, v6, v2, v4
	s_wait_alu 0xfffe
	s_cbranch_vccnz .LBB0_9
; %bb.7:                                ;   in Loop: Header=BB0_2 Depth=1
	v_dual_mov_b32 v5, v7 :: v_dual_mov_b32 v6, v8
	s_branch .LBB0_2
.LBB0_8:
	v_dual_mov_b32 v8, v6 :: v_dual_mov_b32 v7, v5
.LBB0_9:
	s_lshl_b64 s[2:3], s[6:7], 3
	v_mul_hi_u32 v3, 0x4924925, v0
	s_wait_alu 0xfffe
	s_add_nc_u64 s[2:3], s[10:11], s[2:3]
	s_load_b64 s[0:1], s[0:1], 0x20
	s_load_b64 s[2:3], s[2:3], 0x0
	s_delay_alu instid0(VALU_DEP_1) | instskip(NEXT) | instid1(VALU_DEP_1)
	v_mul_u32_u24_e32 v3, 56, v3
	v_sub_nc_u32_e32 v84, v0, v3
	s_delay_alu instid0(VALU_DEP_1)
	v_add_nc_u32_e32 v86, 56, v84
	v_add_nc_u32_e32 v96, 0x70, v84
	;; [unrolled: 1-line block ×4, first 2 shown]
	s_wait_kmcnt 0x0
	v_cmp_gt_u64_e32 vcc_lo, s[0:1], v[7:8]
	v_mul_lo_u32 v3, s2, v8
	v_mul_lo_u32 v4, s3, v7
	v_mad_co_u64_u32 v[0:1], null, s2, v7, v[1:2]
	v_cmp_le_u64_e64 s0, s[0:1], v[7:8]
	v_add_nc_u32_e32 v93, 0x118, v84
	v_add_nc_u32_e32 v92, 0x150, v84
	;; [unrolled: 1-line block ×3, first 2 shown]
	v_or_b32_e32 v90, 0x1c0, v84
	v_add3_u32 v1, v4, v1, v3
	s_and_saveexec_b32 s1, s0
	s_wait_alu 0xfffe
	s_xor_b32 s0, exec_lo, s1
; %bb.10:
	v_add_nc_u32_e32 v86, 56, v84
	v_add_nc_u32_e32 v96, 0x70, v84
	;; [unrolled: 1-line block ×7, first 2 shown]
	v_or_b32_e32 v90, 0x1c0, v84
; %bb.11:
	s_wait_alu 0xfffe
	s_or_saveexec_b32 s1, s0
	v_lshlrev_b64_e32 v[88:89], 4, v[0:1]
	s_wait_alu 0xfffe
	s_xor_b32 exec_lo, exec_lo, s1
	s_cbranch_execz .LBB0_13
; %bb.12:
	v_mov_b32_e32 v85, 0
	s_delay_alu instid0(VALU_DEP_2) | instskip(SKIP_2) | instid1(VALU_DEP_3)
	v_add_co_u32 v2, s0, s8, v88
	s_wait_alu 0xf1ff
	v_add_co_ci_u32_e64 v3, s0, s9, v89, s0
	v_lshlrev_b64_e32 v[0:1], 4, v[84:85]
	v_lshl_add_u32 v72, v84, 4, 0
	s_delay_alu instid0(VALU_DEP_2) | instskip(SKIP_1) | instid1(VALU_DEP_3)
	v_add_co_u32 v68, s0, v2, v0
	s_wait_alu 0xf1ff
	v_add_co_ci_u32_e64 v69, s0, v3, v1, s0
	s_clause 0x11
	global_load_b128 v[0:3], v[68:69], off
	global_load_b128 v[4:7], v[68:69], off offset:896
	global_load_b128 v[8:11], v[68:69], off offset:1792
	;; [unrolled: 1-line block ×17, first 2 shown]
	s_wait_loadcnt 0x11
	ds_store_b128 v72, v[0:3]
	s_wait_loadcnt 0x10
	ds_store_b128 v72, v[4:7] offset:896
	s_wait_loadcnt 0xf
	ds_store_b128 v72, v[8:11] offset:1792
	;; [unrolled: 2-line block ×17, first 2 shown]
.LBB0_13:
	s_or_b32 exec_lo, exec_lo, s1
	v_lshlrev_b32_e32 v85, 4, v84
	global_wb scope:SCOPE_SE
	s_wait_dscnt 0x0
	s_barrier_signal -1
	s_barrier_wait -1
	global_inv scope:SCOPE_SE
	v_add_nc_u32_e32 v99, 0, v85
	v_lshl_add_u32 v112, v96, 5, 0
	v_lshl_add_u32 v103, v95, 5, 0
	;; [unrolled: 1-line block ×4, first 2 shown]
	ds_load_b128 v[0:3], v99 offset:8064
	ds_load_b128 v[4:7], v99
	ds_load_b128 v[8:11], v99 offset:896
	ds_load_b128 v[12:15], v99 offset:8960
	;; [unrolled: 1-line block ×16, first 2 shown]
	v_lshl_add_u32 v104, v92, 5, 0
	v_lshl_add_u32 v102, v91, 5, 0
	;; [unrolled: 1-line block ×3, first 2 shown]
	s_wait_dscnt 0x10
	v_add_f64_e64 v[0:1], v[4:5], -v[0:1]
	v_add_f64_e64 v[2:3], v[6:7], -v[2:3]
	s_wait_dscnt 0xe
	v_add_f64_e64 v[72:73], v[8:9], -v[12:13]
	v_add_f64_e64 v[74:75], v[10:11], -v[14:15]
	;; [unrolled: 3-line block ×9, first 2 shown]
	v_and_b32_e32 v15, 1, v84
	v_add_nc_u32_e32 v14, v99, v85
	v_lshl_add_u32 v12, v86, 5, 0
	global_wb scope:SCOPE_SE
	s_barrier_signal -1
	v_lshlrev_b32_e32 v13, 4, v15
	s_barrier_wait -1
	global_inv scope:SCOPE_SE
	v_lshlrev_b32_e32 v113, 4, v96
	v_lshlrev_b32_e32 v87, 4, v95
	v_lshl_add_u32 v106, v86, 4, 0
	v_lshlrev_b32_e32 v107, 4, v94
	v_lshlrev_b32_e32 v108, 4, v93
	;; [unrolled: 1-line block ×5, first 2 shown]
	v_cmp_gt_u32_e64 s0, 48, v84
	s_mov_b32 s2, 0xe8584caa
	s_mov_b32 s3, 0x3febb67a
	;; [unrolled: 1-line block ×3, first 2 shown]
	v_fma_f64 v[4:5], v[4:5], 2.0, -v[0:1]
	v_fma_f64 v[6:7], v[6:7], 2.0, -v[2:3]
	;; [unrolled: 1-line block ×18, first 2 shown]
	s_wait_alu 0xfffe
	s_mov_b32 s6, s2
	ds_store_b128 v14, v[4:7]
	ds_store_b128 v14, v[0:3] offset:16
	ds_store_b128 v12, v[8:11]
	ds_store_b128 v12, v[72:75] offset:16
	;; [unrolled: 2-line block ×9, first 2 shown]
	global_wb scope:SCOPE_SE
	s_wait_dscnt 0x0
	s_barrier_signal -1
	s_barrier_wait -1
	global_inv scope:SCOPE_SE
	global_load_b128 v[4:7], v13, s[4:5]
	ds_load_b128 v[8:11], v99 offset:8064
	ds_load_b128 v[16:19], v99 offset:8960
	;; [unrolled: 1-line block ×9, first 2 shown]
	ds_load_b128 v[0:3], v99
	v_sub_nc_u32_e32 v56, v112, v113
	v_sub_nc_u32_e32 v14, v100, v111
	s_wait_loadcnt_dscnt 0x9
	v_mul_f64_e32 v[12:13], v[10:11], v[6:7]
	v_mul_f64_e32 v[48:49], v[8:9], v[6:7]
	s_wait_dscnt 0x8
	v_mul_f64_e32 v[50:51], v[18:19], v[6:7]
	v_mul_f64_e32 v[52:53], v[16:17], v[6:7]
	s_wait_dscnt 0x7
	v_mul_f64_e32 v[54:55], v[22:23], v[6:7]
	v_mul_f64_e32 v[57:58], v[20:21], v[6:7]
	s_wait_dscnt 0x6
	v_mul_f64_e32 v[59:60], v[26:27], v[6:7]
	v_mul_f64_e32 v[61:62], v[24:25], v[6:7]
	s_wait_dscnt 0x5
	v_mul_f64_e32 v[63:64], v[30:31], v[6:7]
	v_mul_f64_e32 v[65:66], v[28:29], v[6:7]
	s_wait_dscnt 0x4
	v_mul_f64_e32 v[67:68], v[34:35], v[6:7]
	v_mul_f64_e32 v[69:70], v[32:33], v[6:7]
	s_wait_dscnt 0x3
	v_mul_f64_e32 v[71:72], v[38:39], v[6:7]
	v_mul_f64_e32 v[73:74], v[36:37], v[6:7]
	s_wait_dscnt 0x2
	v_mul_f64_e32 v[75:76], v[42:43], v[6:7]
	v_mul_f64_e32 v[77:78], v[40:41], v[6:7]
	s_wait_dscnt 0x1
	v_mul_f64_e32 v[79:80], v[46:47], v[6:7]
	v_mul_f64_e32 v[6:7], v[44:45], v[6:7]
	v_fma_f64 v[8:9], v[8:9], v[4:5], -v[12:13]
	v_fma_f64 v[10:11], v[10:11], v[4:5], v[48:49]
	v_fma_f64 v[81:82], v[16:17], v[4:5], -v[50:51]
	v_fma_f64 v[97:98], v[18:19], v[4:5], v[52:53]
	;; [unrolled: 2-line block ×9, first 2 shown]
	v_sub_nc_u32_e32 v57, v103, v87
	ds_load_b128 v[17:20], v106
	v_sub_nc_u32_e32 v58, v101, v107
	ds_load_b128 v[21:24], v56
	;; [unrolled: 2-line block ×5, first 2 shown]
	ds_load_b128 v[37:40], v60
	ds_load_b128 v[41:44], v13
	;; [unrolled: 1-line block ×3, first 2 shown]
	v_lshlrev_b32_e32 v6, 1, v93
	v_lshlrev_b32_e32 v7, 1, v92
	;; [unrolled: 1-line block ×3, first 2 shown]
	v_and_b32_e32 v16, 3, v84
	global_wb scope:SCOPE_SE
	s_wait_dscnt 0x0
	v_and_or_b32 v83, 0x2fc, v6, v15
	s_barrier_signal -1
	v_add_f64_e64 v[49:50], v[0:1], -v[8:9]
	v_add_f64_e64 v[51:52], v[2:3], -v[10:11]
	;; [unrolled: 1-line block ×18, first 2 shown]
	v_lshlrev_b32_e32 v9, 1, v84
	v_lshlrev_b32_e32 v10, 1, v86
	;; [unrolled: 1-line block ×6, first 2 shown]
	v_and_or_b32 v53, 0x7c, v9, v15
	v_and_or_b32 v54, 0xfc, v10, v15
	;; [unrolled: 1-line block ×8, first 2 shown]
	v_lshlrev_b32_e32 v126, 4, v16
	v_lshl_add_u32 v53, v53, 4, 0
	v_lshl_add_u32 v54, v54, 4, 0
	;; [unrolled: 1-line block ×5, first 2 shown]
	v_fma_f64 v[0:1], v[0:1], 2.0, -v[49:50]
	v_fma_f64 v[2:3], v[2:3], 2.0, -v[51:52]
	;; [unrolled: 1-line block ×18, first 2 shown]
	v_lshl_add_u32 v83, v83, 4, 0
	v_lshl_add_u32 v97, v97, 4, 0
	;; [unrolled: 1-line block ×4, first 2 shown]
	s_barrier_wait -1
	global_inv scope:SCOPE_SE
	ds_store_b128 v53, v[0:3]
	ds_store_b128 v53, v[49:52] offset:32
	ds_store_b128 v54, v[17:20]
	ds_store_b128 v54, v[61:64] offset:32
	ds_store_b128 v55, v[21:24]
	ds_store_b128 v55, v[65:68] offset:32
	ds_store_b128 v81, v[25:28]
	ds_store_b128 v81, v[69:72] offset:32
	ds_store_b128 v82, v[29:32]
	ds_store_b128 v82, v[73:76] offset:32
	ds_store_b128 v83, v[33:36]
	ds_store_b128 v83, v[77:80] offset:32
	ds_store_b128 v97, v[37:40]
	ds_store_b128 v97, v[114:117] offset:32
	ds_store_b128 v98, v[41:44]
	ds_store_b128 v98, v[118:121] offset:32
	ds_store_b128 v15, v[45:48]
	ds_store_b128 v15, v[122:125] offset:32
	global_wb scope:SCOPE_SE
	s_wait_dscnt 0x0
	s_barrier_signal -1
	s_barrier_wait -1
	global_inv scope:SCOPE_SE
	global_load_b128 v[0:3], v126, s[4:5] offset:32
	ds_load_b128 v[17:20], v99 offset:8064
	ds_load_b128 v[21:24], v99 offset:8960
	;; [unrolled: 1-line block ×9, first 2 shown]
	ds_load_b128 v[61:64], v99
	v_and_b32_e32 v15, 7, v84
	v_and_or_b32 v55, 0x1f8, v11, v16
	v_and_or_b32 v83, 0x2f8, v6, v16
	s_delay_alu instid0(VALU_DEP_3) | instskip(NEXT) | instid1(VALU_DEP_3)
	v_and_or_b32 v11, 0x1f0, v11, v15
	v_lshl_add_u32 v55, v55, 4, 0
	s_delay_alu instid0(VALU_DEP_3) | instskip(SKIP_1) | instid1(VALU_DEP_4)
	v_lshl_add_u32 v83, v83, 4, 0
	v_and_or_b32 v6, 0x2f0, v6, v15
	v_lshl_add_u32 v11, v11, 4, 0
	s_delay_alu instid0(VALU_DEP_2)
	v_lshl_add_u32 v6, v6, 4, 0
	s_wait_loadcnt_dscnt 0x9
	v_mul_f64_e32 v[53:54], v[19:20], v[2:3]
	v_mul_f64_e32 v[65:66], v[17:18], v[2:3]
	s_wait_dscnt 0x8
	v_mul_f64_e32 v[67:68], v[23:24], v[2:3]
	v_mul_f64_e32 v[69:70], v[21:22], v[2:3]
	s_wait_dscnt 0x7
	;; [unrolled: 3-line block ×8, first 2 shown]
	v_mul_f64_e32 v[124:125], v[51:52], v[2:3]
	v_mul_f64_e32 v[2:3], v[49:50], v[2:3]
	v_fma_f64 v[53:54], v[17:18], v[0:1], -v[53:54]
	v_fma_f64 v[65:66], v[19:20], v[0:1], v[65:66]
	v_fma_f64 v[67:68], v[21:22], v[0:1], -v[67:68]
	v_fma_f64 v[69:70], v[23:24], v[0:1], v[69:70]
	;; [unrolled: 2-line block ×9, first 2 shown]
	ds_load_b128 v[0:3], v106
	ds_load_b128 v[17:20], v56
	;; [unrolled: 1-line block ×8, first 2 shown]
	global_wb scope:SCOPE_SE
	s_wait_dscnt 0x0
	s_barrier_signal -1
	s_barrier_wait -1
	global_inv scope:SCOPE_SE
	v_add_f64_e64 v[45:46], v[61:62], -v[53:54]
	v_add_f64_e64 v[47:48], v[63:64], -v[65:66]
	;; [unrolled: 1-line block ×18, first 2 shown]
	v_and_or_b32 v53, 0x78, v9, v16
	v_and_or_b32 v54, 0xf8, v10, v16
	;; [unrolled: 1-line block ×7, first 2 shown]
	v_lshlrev_b32_e32 v126, 4, v15
	v_lshl_add_u32 v53, v53, 4, 0
	v_lshl_add_u32 v54, v54, 4, 0
	;; [unrolled: 1-line block ×7, first 2 shown]
	v_and_or_b32 v9, 0x70, v9, v15
	v_and_or_b32 v10, 0xf0, v10, v15
	;; [unrolled: 1-line block ×5, first 2 shown]
	v_fma_f64 v[61:62], v[61:62], 2.0, -v[45:46]
	v_fma_f64 v[63:64], v[63:64], 2.0, -v[47:48]
	;; [unrolled: 1-line block ×18, first 2 shown]
	v_and_or_b32 v7, 0x3f0, v7, v15
	v_and_or_b32 v8, 0x3f0, v8, v15
	v_lshl_add_u32 v9, v9, 4, 0
	v_lshl_add_u32 v10, v10, 4, 0
	;; [unrolled: 1-line block ×6, first 2 shown]
	ds_store_b128 v53, v[61:64]
	ds_store_b128 v53, v[45:48] offset:64
	ds_store_b128 v54, v[0:3]
	ds_store_b128 v54, v[49:52] offset:64
	;; [unrolled: 2-line block ×9, first 2 shown]
	global_wb scope:SCOPE_SE
	s_wait_dscnt 0x0
	s_barrier_signal -1
	s_barrier_wait -1
	global_inv scope:SCOPE_SE
	global_load_b128 v[16:19], v126, s[4:5] offset:96
	ds_load_b128 v[20:23], v99 offset:8064
	ds_load_b128 v[24:27], v99 offset:8960
	;; [unrolled: 1-line block ×9, first 2 shown]
	ds_load_b128 v[0:3], v99
	v_lshl_add_u32 v8, v8, 4, 0
	s_wait_loadcnt_dscnt 0x9
	v_mul_f64_e32 v[61:62], v[22:23], v[18:19]
	v_mul_f64_e32 v[63:64], v[20:21], v[18:19]
	s_wait_dscnt 0x8
	v_mul_f64_e32 v[65:66], v[26:27], v[18:19]
	v_mul_f64_e32 v[67:68], v[24:25], v[18:19]
	s_wait_dscnt 0x7
	;; [unrolled: 3-line block ×8, first 2 shown]
	v_mul_f64_e32 v[122:123], v[54:55], v[18:19]
	v_mul_f64_e32 v[18:19], v[52:53], v[18:19]
	v_fma_f64 v[61:62], v[20:21], v[16:17], -v[61:62]
	v_fma_f64 v[63:64], v[22:23], v[16:17], v[63:64]
	v_fma_f64 v[65:66], v[24:25], v[16:17], -v[65:66]
	v_fma_f64 v[67:68], v[26:27], v[16:17], v[67:68]
	;; [unrolled: 2-line block ×9, first 2 shown]
	ds_load_b128 v[16:19], v106
	ds_load_b128 v[20:23], v56
	;; [unrolled: 1-line block ×8, first 2 shown]
	global_wb scope:SCOPE_SE
	s_wait_dscnt 0x0
	s_barrier_signal -1
	s_barrier_wait -1
	global_inv scope:SCOPE_SE
	v_add_f64_e64 v[48:49], v[0:1], -v[61:62]
	v_add_f64_e64 v[50:51], v[2:3], -v[63:64]
	;; [unrolled: 1-line block ×18, first 2 shown]
	v_and_b32_e32 v61, 15, v86
	v_and_b32_e32 v63, 15, v84
	;; [unrolled: 1-line block ×3, first 2 shown]
	s_delay_alu instid0(VALU_DEP_3) | instskip(NEXT) | instid1(VALU_DEP_3)
	v_lshlrev_b32_e32 v14, 5, v61
	v_lshlrev_b32_e32 v15, 5, v63
	v_fma_f64 v[0:1], v[0:1], 2.0, -v[48:49]
	v_fma_f64 v[2:3], v[2:3], 2.0, -v[50:51]
	;; [unrolled: 1-line block ×18, first 2 shown]
	ds_store_b128 v9, v[0:3]
	ds_store_b128 v9, v[48:51] offset:128
	ds_store_b128 v10, v[16:19]
	ds_store_b128 v10, v[52:55] offset:128
	;; [unrolled: 2-line block ×9, first 2 shown]
	global_wb scope:SCOPE_SE
	s_wait_dscnt 0x0
	s_barrier_signal -1
	s_barrier_wait -1
	global_inv scope:SCOPE_SE
	s_clause 0x3
	global_load_b128 v[10:13], v14, s[4:5] offset:224
	global_load_b128 v[24:27], v15, s[4:5] offset:224
	;; [unrolled: 1-line block ×4, first 2 shown]
	v_lshlrev_b32_e32 v0, 5, v62
	v_and_b32_e32 v64, 15, v93
	s_clause 0x1
	global_load_b128 v[38:41], v0, s[4:5] offset:224
	global_load_b128 v[46:49], v0, s[4:5] offset:240
	v_lshlrev_b32_e32 v0, 5, v64
	s_clause 0x1
	global_load_b128 v[50:53], v0, s[4:5] offset:224
	global_load_b128 v[65:68], v0, s[4:5] offset:240
	ds_load_b128 v[18:21], v99 offset:6272
	ds_load_b128 v[34:37], v60
	ds_load_b128 v[69:72], v99 offset:10752
	ds_load_b128 v[73:76], v99 offset:11648
	;; [unrolled: 1-line block ×6, first 2 shown]
	ds_load_b128 v[0:3], v59
	ds_load_b128 v[126:129], v99 offset:8960
	ds_load_b128 v[130:133], v99 offset:9856
	;; [unrolled: 1-line block ×4, first 2 shown]
	ds_load_b128 v[4:7], v99
	s_wait_loadcnt_dscnt 0x70d
	v_mul_f64_e32 v[8:9], v[20:21], v[12:13]
	s_wait_loadcnt_dscnt 0x60c
	v_mul_f64_e32 v[22:23], v[36:37], v[26:27]
	;; [unrolled: 2-line block ×3, first 2 shown]
	v_mul_f64_e32 v[54:55], v[34:35], v[26:27]
	v_mul_f64_e32 v[81:82], v[69:70], v[30:31]
	;; [unrolled: 1-line block ×3, first 2 shown]
	s_wait_loadcnt_dscnt 0x40a
	v_mul_f64_e32 v[142:143], v[75:76], v[16:17]
	v_mul_f64_e32 v[16:17], v[73:74], v[16:17]
	s_wait_dscnt 0x9
	v_mul_f64_e32 v[144:145], v[79:80], v[26:27]
	s_wait_dscnt 0x8
	v_mul_f64_e32 v[146:147], v[116:117], v[30:31]
	v_mul_f64_e32 v[150:151], v[77:78], v[26:27]
	;; [unrolled: 1-line block ×3, first 2 shown]
	s_wait_loadcnt_dscnt 0x307
	v_mul_f64_e32 v[148:149], v[120:121], v[40:41]
	s_wait_loadcnt_dscnt 0x206
	v_mul_f64_e32 v[154:155], v[124:125], v[48:49]
	v_mul_f64_e32 v[40:41], v[118:119], v[40:41]
	;; [unrolled: 1-line block ×3, first 2 shown]
	s_wait_dscnt 0x4
	v_mul_f64_e32 v[158:159], v[128:129], v[26:27]
	v_mul_f64_e32 v[26:27], v[126:127], v[26:27]
	s_wait_dscnt 0x2
	v_mul_f64_e32 v[160:161], v[136:137], v[30:31]
	v_mul_f64_e32 v[30:31], v[134:135], v[30:31]
	s_wait_loadcnt 0x1
	v_mul_f64_e32 v[162:163], v[132:133], v[52:53]
	s_wait_loadcnt_dscnt 0x1
	v_mul_f64_e32 v[164:165], v[140:141], v[67:68]
	v_mul_f64_e32 v[166:167], v[130:131], v[52:53]
	;; [unrolled: 1-line block ×3, first 2 shown]
	v_fma_f64 v[32:33], v[18:19], v[10:11], -v[8:9]
	v_fma_f64 v[42:43], v[34:35], v[24:25], -v[22:23]
	;; [unrolled: 1-line block ×3, first 2 shown]
	v_fma_f64 v[54:55], v[36:37], v[24:25], v[54:55]
	v_fma_f64 v[12:13], v[71:72], v[28:29], v[81:82]
	;; [unrolled: 1-line block ×3, first 2 shown]
	v_fma_f64 v[10:11], v[73:74], v[14:15], -v[142:143]
	v_fma_f64 v[16:17], v[75:76], v[14:15], v[16:17]
	v_fma_f64 v[36:37], v[77:78], v[24:25], -v[144:145]
	v_fma_f64 v[14:15], v[114:115], v[28:29], -v[146:147]
	v_fma_f64 v[52:53], v[79:80], v[24:25], v[150:151]
	v_fma_f64 v[20:21], v[116:117], v[28:29], v[152:153]
	v_fma_f64 v[34:35], v[118:119], v[38:39], -v[148:149]
	v_fma_f64 v[18:19], v[122:123], v[46:47], -v[154:155]
	v_fma_f64 v[48:49], v[120:121], v[38:39], v[40:41]
	v_fma_f64 v[22:23], v[124:125], v[46:47], v[156:157]
	v_fma_f64 v[38:39], v[126:127], v[24:25], -v[158:159]
	v_fma_f64 v[46:47], v[128:129], v[24:25], v[26:27]
	v_fma_f64 v[24:25], v[134:135], v[28:29], -v[160:161]
	;; [unrolled: 2-line block ×3, first 2 shown]
	v_fma_f64 v[26:27], v[138:139], v[65:66], -v[164:165]
	v_fma_f64 v[50:51], v[132:133], v[50:51], v[166:167]
	v_fma_f64 v[30:31], v[140:141], v[65:66], v[67:68]
	v_lshrrev_b32_e32 v130, 4, v93
	v_lshrrev_b32_e32 v65, 4, v84
	v_subrev_nc_u32_e32 v134, 48, v84
	v_lshrrev_b32_e32 v66, 4, v86
	v_lshrrev_b32_e32 v67, 4, v96
	v_mul_lo_u32 v166, v130, 48
	v_lshrrev_b32_e32 v68, 4, v95
	v_mul_u32_u24_e32 v161, 48, v65
	v_cndmask_b32_e64 v65, v134, v84, s0
	v_mul_lo_u32 v162, v66, 48
	v_mul_lo_u32 v163, v67, 48
	;; [unrolled: 1-line block ×3, first 2 shown]
	ds_load_b128 v[66:69], v106
	ds_load_b128 v[70:73], v56
	;; [unrolled: 1-line block ×4, first 2 shown]
	v_and_b32_e32 v136, 0xff, v86
	v_and_b32_e32 v137, 0xff, v96
	v_add_f64_e32 v[82:83], v[42:43], v[8:9]
	s_wait_dscnt 0x4
	v_add_f64_e32 v[138:139], v[4:5], v[42:43]
	v_add_f64_e32 v[114:115], v[54:55], v[12:13]
	v_mul_lo_u16 v167, 0xab, v136
	v_add_f64_e32 v[116:117], v[32:33], v[10:11]
	v_add_f64_e32 v[118:119], v[44:45], v[16:17]
	v_mul_lo_u16 v168, 0xab, v137
	v_add_f64_e32 v[120:121], v[36:37], v[14:15]
	v_add_f64_e32 v[136:137], v[6:7], v[54:55]
	;; [unrolled: 1-line block ×3, first 2 shown]
	v_add_f64_e64 v[54:55], v[54:55], -v[12:13]
	v_add_f64_e32 v[124:125], v[34:35], v[18:19]
	v_add_f64_e64 v[42:43], v[42:43], -v[8:9]
	v_add_f64_e32 v[126:127], v[48:49], v[22:23]
	v_lshrrev_b32_e32 v97, 4, v94
	s_wait_dscnt 0x3
	v_add_f64_e32 v[140:141], v[68:69], v[44:45]
	v_add_f64_e32 v[128:129], v[38:39], v[24:25]
	;; [unrolled: 1-line block ×5, first 2 shown]
	s_wait_dscnt 0x2
	v_add_f64_e32 v[144:145], v[72:73], v[52:53]
	v_add_f64_e32 v[134:135], v[50:51], v[30:31]
	;; [unrolled: 1-line block ×3, first 2 shown]
	s_wait_dscnt 0x1
	v_add_f64_e32 v[148:149], v[76:77], v[48:49]
	v_add_f64_e32 v[150:151], v[74:75], v[34:35]
	s_wait_dscnt 0x0
	v_add_f64_e32 v[152:153], v[80:81], v[46:47]
	v_add_f64_e32 v[154:155], v[78:79], v[38:39]
	;; [unrolled: 1-line block ×4, first 2 shown]
	v_add_f64_e64 v[44:45], v[44:45], -v[16:17]
	v_add_f64_e64 v[52:53], v[52:53], -v[20:21]
	v_mov_b32_e32 v98, 0
	v_mul_lo_u32 v165, v97, 48
	v_lshlrev_b32_e32 v97, 1, v65
	v_or_b32_e32 v161, v161, v63
	v_or_b32_e32 v62, v164, v62
	;; [unrolled: 1-line block ×3, first 2 shown]
	v_and_b32_e32 v160, 0xff, v95
	v_fma_f64 v[82:83], v[82:83], -0.5, v[4:5]
	global_wb scope:SCOPE_SE
	v_fma_f64 v[114:115], v[114:115], -0.5, v[6:7]
	v_lshl_add_u32 v62, v62, 4, 0
	v_fma_f64 v[66:67], v[116:117], -0.5, v[66:67]
	v_add_f64_e64 v[116:117], v[32:33], -v[10:11]
	v_fma_f64 v[68:69], v[118:119], -0.5, v[68:69]
	v_fma_f64 v[70:71], v[120:121], -0.5, v[70:71]
	v_add_f64_e64 v[118:119], v[36:37], -v[14:15]
	v_fma_f64 v[72:73], v[122:123], -0.5, v[72:73]
	v_add_f64_e64 v[120:121], v[48:49], -v[22:23]
	;; [unrolled: 2-line block ×4, first 2 shown]
	v_add_f64_e64 v[126:127], v[38:39], -v[24:25]
	v_fma_f64 v[78:79], v[128:129], -0.5, v[78:79]
	v_fma_f64 v[80:81], v[130:131], -0.5, v[80:81]
	v_add_f64_e64 v[128:129], v[50:51], -v[30:31]
	v_fma_f64 v[130:131], v[132:133], -0.5, v[0:1]
	v_add_f64_e64 v[132:133], v[40:41], -v[26:27]
	v_fma_f64 v[134:135], v[134:135], -0.5, v[2:3]
	v_add_f64_e32 v[3:4], v[136:137], v[12:13]
	v_add_f64_e32 v[1:2], v[138:139], v[8:9]
	;; [unrolled: 1-line block ×12, first 2 shown]
	v_lshl_add_u32 v64, v64, 4, 0
	s_barrier_signal -1
	s_barrier_wait -1
	global_inv scope:SCOPE_SE
	v_fma_f64 v[25:26], v[54:55], s[2:3], v[82:83]
	s_wait_alu 0xfffe
	v_fma_f64 v[29:30], v[54:55], s[6:7], v[82:83]
	v_fma_f64 v[27:28], v[42:43], s[6:7], v[114:115]
	;; [unrolled: 1-line block ×23, first 2 shown]
	v_lshlrev_b64_e32 v[53:54], 4, v[97:98]
	v_or_b32_e32 v55, v162, v61
	v_or_b32_e32 v61, v163, v63
	;; [unrolled: 1-line block ×3, first 2 shown]
	v_lshl_add_u32 v82, v161, 4, 0
	v_lshrrev_b16 v0, 13, v167
	v_add_co_u32 v53, s0, s4, v53
	s_wait_alu 0xf1ff
	v_add_co_ci_u32_e64 v54, s0, s5, v54, s0
	v_lshl_add_u32 v55, v55, 4, 0
	v_lshl_add_u32 v61, v61, 4, 0
	;; [unrolled: 1-line block ×3, first 2 shown]
	ds_store_b128 v82, v[1:4]
	ds_store_b128 v82, v[25:28] offset:256
	ds_store_b128 v82, v[29:32] offset:512
	ds_store_b128 v55, v[5:8]
	ds_store_b128 v55, v[33:36] offset:256
	ds_store_b128 v55, v[37:40] offset:512
	ds_store_b128 v61, v[9:12]
	ds_store_b128 v61, v[41:44] offset:256
	ds_store_b128 v61, v[45:48] offset:512
	ds_store_b128 v62, v[13:16]
	ds_store_b128 v62, v[49:52] offset:256
	ds_store_b128 v62, v[66:69] offset:512
	ds_store_b128 v63, v[17:20]
	ds_store_b128 v63, v[70:73] offset:256
	ds_store_b128 v63, v[74:77] offset:512
	ds_store_b128 v64, v[21:24]
	ds_store_b128 v64, v[78:81] offset:256
	ds_store_b128 v64, v[114:117] offset:512
	global_wb scope:SCOPE_SE
	s_wait_dscnt 0x0
	s_barrier_signal -1
	s_barrier_wait -1
	global_inv scope:SCOPE_SE
	s_clause 0x1
	global_load_b128 v[1:4], v[53:54], off offset:736
	global_load_b128 v[5:8], v[53:54], off offset:752
	v_and_b32_e32 v9, 0xffff, v94
	v_mul_lo_u16 v11, 0xab, v160
	v_and_b32_e32 v10, 0xffff, v93
	v_lshrrev_b16 v15, 13, v168
	v_mul_lo_u16 v12, v0, 48
	v_mul_u32_u24_e32 v9, 0xaaab, v9
	v_lshrrev_b16 v97, 13, v11
	v_mul_u32_u24_e32 v10, 0xaaab, v10
	v_mul_lo_u16 v11, v15, 48
	v_sub_nc_u16 v12, v86, v12
	v_lshrrev_b32_e32 v22, 21, v9
	v_mul_lo_u16 v9, v97, 48
	v_lshrrev_b32_e32 v17, 21, v10
	v_sub_nc_u16 v10, v96, v11
	v_and_b32_e32 v16, 0xff, v12
	v_mul_lo_u16 v11, v22, 48
	v_sub_nc_u16 v9, v95, v9
	v_mul_lo_u16 v12, v17, 48
	v_and_b32_e32 v18, 0xff, v10
	v_lshlrev_b32_e32 v13, 5, v16
	v_sub_nc_u16 v14, v94, v11
	v_and_b32_e32 v19, 0xff, v9
	v_sub_nc_u16 v21, v93, v12
	v_lshlrev_b32_e32 v31, 5, v18
	s_clause 0x1
	global_load_b128 v[9:12], v13, s[4:5] offset:736
	global_load_b128 v[23:26], v13, s[4:5] offset:752
	v_and_b32_e32 v20, 0xffff, v14
	v_lshlrev_b32_e32 v13, 5, v19
	v_and_b32_e32 v21, 0xffff, v21
	s_clause 0x1
	global_load_b128 v[27:30], v31, s[4:5] offset:736
	global_load_b128 v[31:34], v31, s[4:5] offset:752
	v_lshlrev_b32_e32 v169, 4, v65
	v_lshlrev_b32_e32 v14, 5, v20
	s_clause 0x2
	global_load_b128 v[35:38], v13, s[4:5] offset:736
	global_load_b128 v[39:42], v13, s[4:5] offset:752
	;; [unrolled: 1-line block ×3, first 2 shown]
	v_lshlrev_b32_e32 v13, 5, v21
	s_clause 0x2
	global_load_b128 v[47:50], v14, s[4:5] offset:752
	global_load_b128 v[51:54], v13, s[4:5] offset:736
	;; [unrolled: 1-line block ×3, first 2 shown]
	ds_load_b128 v[66:69], v60
	ds_load_b128 v[70:73], v99 offset:10752
	ds_load_b128 v[74:77], v59
	ds_load_b128 v[78:81], v99 offset:11648
	ds_load_b128 v[114:117], v99 offset:6272
	;; [unrolled: 1-line block ×10, first 2 shown]
	ds_load_b128 v[150:153], v99
	v_cmp_lt_u32_e64 s0, 47, v84
	v_and_b32_e32 v170, 0xffff, v15
	v_lshlrev_b32_e32 v16, 4, v16
	v_mul_u32_u24_e32 v22, 0x900, v22
	v_mul_u32_u24_e32 v17, 0x900, v17
	s_wait_alu 0xf1ff
	v_cndmask_b32_e64 v168, 0, 0x900, s0
	v_lshlrev_b32_e32 v18, 4, v18
	v_lshlrev_b32_e32 v19, 4, v19
	;; [unrolled: 1-line block ×4, first 2 shown]
	v_add3_u32 v168, 0, v168, v169
	v_and_b32_e32 v169, 0xffff, v0
	v_cmp_gt_u32_e64 s0, 32, v84
	v_add3_u32 v20, 0, v22, v20
	v_add3_u32 v17, 0, v17, v21
	s_wait_loadcnt_dscnt 0xb0d
	v_mul_f64_e32 v[13:14], v[68:69], v[3:4]
	v_mul_f64_e32 v[3:4], v[66:67], v[3:4]
	s_wait_loadcnt_dscnt 0xa0c
	v_mul_f64_e32 v[59:60], v[72:73], v[7:8]
	v_mul_f64_e32 v[7:8], v[70:71], v[7:8]
	;; [unrolled: 3-line block ×3, first 2 shown]
	s_wait_loadcnt 0x8
	v_mul_f64_e32 v[154:155], v[80:81], v[25:26]
	v_mul_f64_e32 v[25:26], v[78:79], v[25:26]
	s_wait_loadcnt_dscnt 0x708
	v_mul_f64_e32 v[156:157], v[120:121], v[29:30]
	v_mul_f64_e32 v[29:30], v[118:119], v[29:30]
	s_wait_loadcnt_dscnt 0x607
	;; [unrolled: 3-line block ×4, first 2 shown]
	v_mul_f64_e32 v[162:163], v[132:133], v[41:42]
	v_mul_f64_e32 v[41:42], v[130:131], v[41:42]
	v_fma_f64 v[13:14], v[66:67], v[1:2], -v[13:14]
	v_fma_f64 v[66:67], v[68:69], v[1:2], v[3:4]
	s_wait_loadcnt_dscnt 0x304
	v_mul_f64_e32 v[1:2], v[136:137], v[45:46]
	v_mul_f64_e32 v[3:4], v[134:135], v[45:46]
	s_wait_loadcnt_dscnt 0x203
	v_mul_f64_e32 v[45:46], v[140:141], v[49:50]
	v_mul_f64_e32 v[49:50], v[138:139], v[49:50]
	v_fma_f64 v[59:60], v[70:71], v[5:6], -v[59:60]
	v_fma_f64 v[68:69], v[72:73], v[5:6], v[7:8]
	s_wait_loadcnt_dscnt 0x102
	v_mul_f64_e32 v[5:6], v[144:145], v[53:54]
	v_mul_f64_e32 v[7:8], v[142:143], v[53:54]
	s_wait_loadcnt_dscnt 0x1
	v_mul_f64_e32 v[53:54], v[148:149], v[63:64]
	v_mul_f64_e32 v[63:64], v[146:147], v[63:64]
	v_fma_f64 v[70:71], v[114:115], v[9:10], -v[82:83]
	v_fma_f64 v[72:73], v[116:117], v[9:10], v[11:12]
	v_fma_f64 v[78:79], v[78:79], v[23:24], -v[154:155]
	v_fma_f64 v[80:81], v[80:81], v[23:24], v[25:26]
	;; [unrolled: 2-line block ×6, first 2 shown]
	s_wait_dscnt 0x0
	v_add_f64_e32 v[132:133], v[152:153], v[66:67]
	v_fma_f64 v[37:38], v[134:135], v[43:44], -v[1:2]
	v_fma_f64 v[39:40], v[136:137], v[43:44], v[3:4]
	v_fma_f64 v[43:44], v[138:139], v[47:48], -v[45:46]
	v_fma_f64 v[41:42], v[140:141], v[47:48], v[49:50]
	ds_load_b128 v[1:4], v106
	v_add_f64_e32 v[134:135], v[150:151], v[13:14]
	v_fma_f64 v[45:46], v[142:143], v[51:52], -v[5:6]
	v_fma_f64 v[47:48], v[144:145], v[51:52], v[7:8]
	ds_load_b128 v[5:8], v56
	v_fma_f64 v[49:50], v[146:147], v[61:62], -v[53:54]
	v_fma_f64 v[51:52], v[148:149], v[61:62], v[63:64]
	v_add_f64_e32 v[53:54], v[13:14], v[59:60]
	v_add_f64_e32 v[61:62], v[66:67], v[68:69]
	ds_load_b128 v[9:12], v57
	ds_load_b128 v[23:26], v58
	v_add_f64_e64 v[65:66], v[66:67], -v[68:69]
	v_add_f64_e64 v[13:14], v[13:14], -v[59:60]
	global_wb scope:SCOPE_SE
	s_wait_dscnt 0x0
	s_barrier_signal -1
	s_barrier_wait -1
	global_inv scope:SCOPE_SE
	v_add_f64_e32 v[138:139], v[1:2], v[70:71]
	v_add_f64_e32 v[136:137], v[3:4], v[72:73]
	;; [unrolled: 1-line block ×4, first 2 shown]
	v_add_f64_e64 v[72:73], v[72:73], -v[80:81]
	v_add_f64_e32 v[140:141], v[7:8], v[27:28]
	v_add_f64_e32 v[120:121], v[82:83], v[114:115]
	v_add_f64_e32 v[55:56], v[27:28], v[31:32]
	v_add_f64_e32 v[142:143], v[5:6], v[82:83]
	v_add_f64_e64 v[82:83], v[82:83], -v[114:115]
	v_add_f64_e32 v[122:123], v[29:30], v[116:117]
	v_add_f64_e32 v[57:58], v[33:34], v[35:36]
	;; [unrolled: 1-line block ×8, first 2 shown]
	v_add_f64_e64 v[160:161], v[39:40], -v[41:42]
	v_add_f64_e64 v[162:163], v[37:38], -v[43:44]
	v_add_f64_e32 v[158:159], v[74:75], v[45:46]
	v_add_f64_e32 v[156:157], v[76:77], v[47:48]
	;; [unrolled: 1-line block ×4, first 2 shown]
	v_fma_f64 v[53:54], v[53:54], -0.5, v[150:151]
	v_fma_f64 v[61:62], v[61:62], -0.5, v[152:153]
	v_add_f64_e64 v[152:153], v[33:34], -v[35:36]
	v_add_f64_e64 v[164:165], v[47:48], -v[51:52]
	;; [unrolled: 1-line block ×3, first 2 shown]
	v_fma_f64 v[1:2], v[63:64], -0.5, v[1:2]
	v_add_f64_e64 v[63:64], v[70:71], -v[78:79]
	v_fma_f64 v[70:71], v[118:119], -0.5, v[3:4]
	v_add_f64_e64 v[118:119], v[27:28], -v[31:32]
	v_fma_f64 v[120:121], v[120:121], -0.5, v[5:6]
	v_fma_f64 v[150:151], v[55:56], -0.5, v[7:8]
	v_add_f64_e32 v[27:28], v[138:139], v[78:79]
	v_add_f64_e32 v[33:34], v[140:141], v[31:32]
	v_fma_f64 v[8:9], v[122:123], -0.5, v[9:10]
	v_add_f64_e64 v[122:123], v[29:30], -v[116:117]
	v_fma_f64 v[10:11], v[57:58], -0.5, v[11:12]
	v_add_f64_e32 v[29:30], v[136:137], v[80:81]
	v_add_f64_e32 v[39:40], v[154:155], v[43:44]
	;; [unrolled: 1-line block ×3, first 2 shown]
	v_fma_f64 v[124:125], v[124:125], -0.5, v[23:24]
	v_fma_f64 v[126:127], v[126:127], -0.5, v[25:26]
	v_add_f64_e32 v[25:26], v[132:133], v[68:69]
	v_add_f64_e32 v[23:24], v[134:135], v[59:60]
	;; [unrolled: 1-line block ×5, first 2 shown]
	v_fma_f64 v[128:129], v[128:129], -0.5, v[74:75]
	v_fma_f64 v[130:131], v[130:131], -0.5, v[76:77]
	v_fma_f64 v[43:44], v[65:66], s[2:3], v[53:54]
	v_fma_f64 v[45:46], v[13:14], s[6:7], v[61:62]
	v_fma_f64 v[47:48], v[65:66], s[6:7], v[53:54]
	v_fma_f64 v[49:50], v[13:14], s[2:3], v[61:62]
	v_add_f64_e32 v[35:36], v[146:147], v[116:117]
	v_add_f64_e32 v[41:42], v[148:149], v[41:42]
	v_and_b32_e32 v79, 0xffff, v97
	v_mul_u32_u24_e32 v80, 0x900, v169
	v_mul_u32_u24_e32 v81, 0x900, v170
	s_delay_alu instid0(VALU_DEP_3) | instskip(NEXT) | instid1(VALU_DEP_3)
	v_mul_u32_u24_e32 v79, 0x900, v79
	v_add3_u32 v16, 0, v80, v16
	s_delay_alu instid0(VALU_DEP_3)
	v_add3_u32 v18, 0, v81, v18
	v_fma_f64 v[51:52], v[72:73], s[2:3], v[1:2]
	v_fma_f64 v[55:56], v[72:73], s[6:7], v[1:2]
	;; [unrolled: 1-line block ×12, first 2 shown]
	v_add3_u32 v19, 0, v79, v19
	v_fma_f64 v[75:76], v[160:161], s[2:3], v[124:125]
	v_fma_f64 v[77:78], v[162:163], s[6:7], v[126:127]
	;; [unrolled: 1-line block ×8, first 2 shown]
	ds_store_b128 v168, v[23:26]
	ds_store_b128 v168, v[43:46] offset:768
	ds_store_b128 v168, v[47:50] offset:1536
	ds_store_b128 v16, v[27:30]
	ds_store_b128 v16, v[51:54] offset:768
	ds_store_b128 v16, v[55:58] offset:1536
	;; [unrolled: 3-line block ×6, first 2 shown]
	global_wb scope:SCOPE_SE
	s_wait_dscnt 0x0
	s_barrier_signal -1
	s_barrier_wait -1
	global_inv scope:SCOPE_SE
	ds_load_b128 v[32:35], v99
	ds_load_b128 v[72:75], v99 offset:2304
	ds_load_b128 v[68:71], v99 offset:4608
	ds_load_b128 v[52:55], v99 offset:3200
	ds_load_b128 v[44:47], v99 offset:6912
	ds_load_b128 v[56:59], v99 offset:5504
	ds_load_b128 v[48:51], v99 offset:9216
	ds_load_b128 v[36:39], v99 offset:7808
	ds_load_b128 v[76:79], v99 offset:11520
	ds_load_b128 v[40:43], v99 offset:10112
	ds_load_b128 v[80:83], v99 offset:13824
	ds_load_b128 v[60:63], v99 offset:12416
	ds_load_b128 v[28:31], v106
	ds_load_b128 v[64:67], v99 offset:14720
	v_sub_nc_u32_e32 v16, 0, v113
                                        ; implicit-def: $vgpr26_vgpr27
                                        ; implicit-def: $vgpr22_vgpr23
                                        ; implicit-def: $vgpr18_vgpr19
	s_delay_alu instid0(VALU_DEP_1)
	v_add_nc_u32_e32 v112, v112, v16
	s_and_saveexec_b32 s1, s0
	s_cbranch_execz .LBB0_15
; %bb.14:
	ds_load_b128 v[0:3], v112
	ds_load_b128 v[4:7], v99 offset:4096
	ds_load_b128 v[8:11], v99 offset:6400
	;; [unrolled: 1-line block ×6, first 2 shown]
.LBB0_15:
	s_wait_alu 0xfffe
	s_or_b32 exec_lo, exec_lo, s1
	v_mul_u32_u24_e32 v113, 6, v84
	v_mul_i32_i24_e32 v97, 6, v86
	s_mov_b32 s10, 0x37e14327
	s_mov_b32 s14, 0xe976ee23
	;; [unrolled: 1-line block ×3, first 2 shown]
	v_lshlrev_b32_e32 v149, 4, v113
	v_lshlrev_b64_e32 v[97:98], 4, v[97:98]
	s_mov_b32 s15, 0xbfe11646
	s_mov_b32 s2, 0x429ad128
	;; [unrolled: 1-line block ×3, first 2 shown]
	s_clause 0x3
	global_load_b128 v[113:116], v149, s[4:5] offset:2272
	global_load_b128 v[117:120], v149, s[4:5] offset:2288
	;; [unrolled: 1-line block ×4, first 2 shown]
	s_mov_b32 s3, 0x3febfeb5
	v_add_co_u32 v97, s1, s4, v97
	s_wait_alu 0xf1ff
	v_add_co_ci_u32_e64 v98, s1, s5, v98, s1
	s_mov_b32 s7, 0x3fac98ee
	s_mov_b32 s12, 0xaaaaaaaa
	s_clause 0x7
	global_load_b128 v[129:132], v[97:98], off offset:2272
	global_load_b128 v[133:136], v[97:98], off offset:2288
	;; [unrolled: 1-line block ×4, first 2 shown]
	global_load_b128 v[145:148], v149, s[4:5] offset:2304
	global_load_b128 v[149:152], v149, s[4:5] offset:2320
	global_load_b128 v[153:156], v[97:98], off offset:2304
	global_load_b128 v[157:160], v[97:98], off offset:2320
	s_mov_b32 s20, 0xb247c609
	s_mov_b32 s13, 0xbff2aaaa
	;; [unrolled: 1-line block ×8, first 2 shown]
	s_wait_alu 0xfffe
	s_mov_b32 s22, s20
	s_mov_b32 s24, 0x37c3f68c
	;; [unrolled: 1-line block ×3, first 2 shown]
	global_wb scope:SCOPE_SE
	s_wait_loadcnt_dscnt 0x0
	s_barrier_signal -1
	s_barrier_wait -1
	global_inv scope:SCOPE_SE
	v_mul_f64_e32 v[97:98], v[74:75], v[115:116]
	v_mul_f64_e32 v[115:116], v[72:73], v[115:116]
	;; [unrolled: 1-line block ×20, first 2 shown]
	v_fma_f64 v[72:73], v[72:73], v[113:114], -v[97:98]
	v_fma_f64 v[74:75], v[74:75], v[113:114], v[115:116]
	v_fma_f64 v[68:69], v[68:69], v[117:118], -v[161:162]
	v_fma_f64 v[70:71], v[70:71], v[117:118], v[119:120]
	;; [unrolled: 2-line block ×4, first 2 shown]
	v_mul_f64_e32 v[97:98], v[38:39], v[155:156]
	v_mul_f64_e32 v[113:114], v[36:37], v[155:156]
	;; [unrolled: 1-line block ×4, first 2 shown]
	v_fma_f64 v[52:53], v[52:53], v[129:130], -v[167:168]
	v_fma_f64 v[54:55], v[54:55], v[129:130], v[131:132]
	v_fma_f64 v[56:57], v[56:57], v[133:134], -v[169:170]
	v_fma_f64 v[58:59], v[58:59], v[133:134], v[135:136]
	;; [unrolled: 2-line block ×6, first 2 shown]
	v_add_f64_e32 v[119:120], v[72:73], v[80:81]
	v_add_f64_e32 v[121:122], v[74:75], v[82:83]
	;; [unrolled: 1-line block ×4, first 2 shown]
	v_fma_f64 v[36:37], v[36:37], v[153:154], -v[97:98]
	v_fma_f64 v[38:39], v[38:39], v[153:154], v[113:114]
	v_fma_f64 v[40:41], v[40:41], v[157:158], -v[115:116]
	v_fma_f64 v[42:43], v[42:43], v[157:158], v[117:118]
	v_add_f64_e64 v[68:69], v[68:69], -v[76:77]
	v_add_f64_e64 v[70:71], v[70:71], -v[78:79]
	v_add_f64_e32 v[97:98], v[52:53], v[64:65]
	v_add_f64_e32 v[113:114], v[54:55], v[66:67]
	;; [unrolled: 1-line block ×4, first 2 shown]
	v_add_f64_e64 v[56:57], v[56:57], -v[60:61]
	v_add_f64_e64 v[58:59], v[58:59], -v[62:63]
	v_add_f64_e32 v[127:128], v[44:45], v[48:49]
	v_add_f64_e32 v[129:130], v[46:47], v[50:51]
	v_add_f64_e64 v[44:45], v[48:49], -v[44:45]
	v_add_f64_e64 v[46:47], v[50:51], -v[46:47]
	;; [unrolled: 1-line block ×4, first 2 shown]
	v_add_f64_e32 v[72:73], v[123:124], v[119:120]
	v_add_f64_e32 v[74:75], v[125:126], v[121:122]
	;; [unrolled: 1-line block ×4, first 2 shown]
	v_add_f64_e64 v[36:37], v[40:41], -v[36:37]
	v_add_f64_e64 v[38:39], v[42:43], -v[38:39]
	;; [unrolled: 1-line block ×4, first 2 shown]
	v_add_f64_e32 v[52:53], v[115:116], v[97:98]
	v_add_f64_e32 v[54:55], v[117:118], v[113:114]
	v_add_f64_e64 v[64:65], v[119:120], -v[127:128]
	v_add_f64_e64 v[66:67], v[121:122], -v[129:130]
	;; [unrolled: 1-line block ×8, first 2 shown]
	v_add_f64_e32 v[68:69], v[44:45], v[68:69]
	v_add_f64_e32 v[70:71], v[46:47], v[70:71]
	v_add_f64_e64 v[44:45], v[48:49], -v[44:45]
	v_add_f64_e64 v[46:47], v[50:51], -v[46:47]
	;; [unrolled: 1-line block ×4, first 2 shown]
	v_add_f64_e32 v[72:73], v[127:128], v[72:73]
	v_add_f64_e32 v[74:75], v[129:130], v[74:75]
	v_add_f64_e64 v[127:128], v[97:98], -v[60:61]
	v_add_f64_e64 v[129:130], v[113:114], -v[62:63]
	;; [unrolled: 1-line block ×6, first 2 shown]
	v_add_f64_e32 v[56:57], v[36:37], v[56:57]
	v_add_f64_e32 v[58:59], v[38:39], v[58:59]
	;; [unrolled: 1-line block ×4, first 2 shown]
	v_add_f64_e64 v[60:61], v[60:61], -v[115:116]
	v_add_f64_e64 v[62:63], v[62:63], -v[117:118]
	v_mul_f64_e32 v[64:65], s[10:11], v[64:65]
	v_mul_f64_e32 v[66:67], s[10:11], v[66:67]
	;; [unrolled: 1-line block ×8, first 2 shown]
	v_add_f64_e64 v[36:37], v[40:41], -v[36:37]
	v_add_f64_e64 v[38:39], v[42:43], -v[38:39]
	;; [unrolled: 1-line block ×4, first 2 shown]
	v_add_f64_e32 v[48:49], v[68:69], v[48:49]
	v_add_f64_e32 v[50:51], v[70:71], v[50:51]
	;; [unrolled: 1-line block ×4, first 2 shown]
	v_mul_f64_e32 v[127:128], s[10:11], v[127:128]
	v_mul_f64_e32 v[129:130], s[10:11], v[129:130]
	;; [unrolled: 1-line block ×6, first 2 shown]
	v_add_f64_e32 v[40:41], v[56:57], v[40:41]
	v_add_f64_e32 v[42:43], v[58:59], v[42:43]
	;; [unrolled: 1-line block ×4, first 2 shown]
	v_mul_f64_e32 v[115:116], s[6:7], v[60:61]
	v_mul_f64_e32 v[117:118], s[6:7], v[62:63]
	v_fma_f64 v[56:57], v[76:77], s[6:7], v[64:65]
	v_fma_f64 v[58:59], v[78:79], s[6:7], v[66:67]
	;; [unrolled: 1-line block ×4, first 2 shown]
	s_wait_alu 0xfffe
	v_fma_f64 v[44:45], v[44:45], s[22:23], -v[143:144]
	v_fma_f64 v[46:47], v[46:47], s[22:23], -v[145:146]
	;; [unrolled: 1-line block ×8, first 2 shown]
	v_fma_f64 v[72:73], v[72:73], s[12:13], v[32:33]
	v_fma_f64 v[74:75], v[74:75], s[12:13], v[34:35]
	;; [unrolled: 1-line block ×6, first 2 shown]
	v_fma_f64 v[123:124], v[139:140], s[2:3], -v[135:136]
	v_fma_f64 v[125:126], v[141:142], s[2:3], -v[137:138]
	;; [unrolled: 1-line block ×4, first 2 shown]
	v_fma_f64 v[52:53], v[52:53], s[12:13], v[28:29]
	v_fma_f64 v[54:55], v[54:55], s[12:13], v[30:31]
	v_fma_f64 v[127:128], v[97:98], s[18:19], -v[127:128]
	v_fma_f64 v[129:130], v[113:114], s[18:19], -v[129:130]
	;; [unrolled: 1-line block ×4, first 2 shown]
	v_fma_f64 v[76:77], v[48:49], s[24:25], v[76:77]
	v_fma_f64 v[78:79], v[50:51], s[24:25], v[78:79]
	v_fma_f64 v[115:116], v[48:49], s[24:25], v[44:45]
	v_fma_f64 v[117:118], v[50:51], s[24:25], v[46:47]
	v_fma_f64 v[80:81], v[48:49], s[24:25], v[80:81]
	v_fma_f64 v[82:83], v[50:51], s[24:25], v[82:83]
	v_add_f64_e32 v[56:57], v[56:57], v[72:73]
	v_add_f64_e32 v[58:59], v[58:59], v[74:75]
	;; [unrolled: 1-line block ×6, first 2 shown]
	v_fma_f64 v[119:120], v[40:41], s[24:25], v[119:120]
	v_fma_f64 v[121:122], v[42:43], s[24:25], v[121:122]
	;; [unrolled: 1-line block ×6, first 2 shown]
	v_add_f64_e32 v[131:132], v[60:61], v[52:53]
	v_add_f64_e32 v[133:134], v[62:63], v[54:55]
	;; [unrolled: 1-line block ×7, first 2 shown]
	v_add_f64_e64 v[38:39], v[58:59], -v[76:77]
	v_add_f64_e32 v[40:41], v[117:118], v[64:65]
	v_add_f64_e64 v[42:43], v[66:67], -v[115:116]
	v_add_f64_e64 v[44:45], v[48:49], -v[82:83]
	v_add_f64_e32 v[46:47], v[80:81], v[50:51]
	v_add_f64_e32 v[48:49], v[82:83], v[48:49]
	v_add_f64_e64 v[50:51], v[50:51], -v[80:81]
	v_add_f64_e64 v[52:53], v[64:65], -v[117:118]
	v_add_f64_e32 v[54:55], v[115:116], v[66:67]
	v_add_f64_e64 v[56:57], v[56:57], -v[78:79]
	v_add_f64_e32 v[58:59], v[76:77], v[58:59]
	v_add_f64_e32 v[60:61], v[121:122], v[131:132]
	v_add_f64_e64 v[62:63], v[133:134], -v[119:120]
	v_add_f64_e32 v[64:65], v[125:126], v[127:128]
	v_add_f64_e64 v[66:67], v[129:130], -v[123:124]
	v_add_f64_e64 v[68:69], v[97:98], -v[72:73]
	v_add_f64_e32 v[70:71], v[74:75], v[113:114]
	v_add_f64_e32 v[72:73], v[72:73], v[97:98]
	v_add_f64_e64 v[74:75], v[113:114], -v[74:75]
	v_add_f64_e64 v[76:77], v[127:128], -v[125:126]
	v_add_f64_e32 v[78:79], v[123:124], v[129:130]
	v_add_f64_e64 v[80:81], v[131:132], -v[121:122]
	v_add_f64_e32 v[82:83], v[119:120], v[133:134]
	ds_store_b128 v99, v[32:35]
	ds_store_b128 v99, v[36:39] offset:2304
	ds_store_b128 v99, v[40:43] offset:4608
	;; [unrolled: 1-line block ×6, first 2 shown]
	ds_store_b128 v106, v[28:31]
	ds_store_b128 v106, v[60:63] offset:2304
	ds_store_b128 v106, v[64:67] offset:4608
	;; [unrolled: 1-line block ×6, first 2 shown]
	s_and_saveexec_b32 s1, s0
	s_cbranch_execz .LBB0_17
; %bb.16:
	v_subrev_nc_u32_e32 v28, 32, v84
	v_mov_b32_e32 v29, 0
	s_delay_alu instid0(VALU_DEP_2) | instskip(NEXT) | instid1(VALU_DEP_1)
	v_cndmask_b32_e64 v28, v28, v96, s0
	v_mul_i32_i24_e32 v28, 6, v28
	s_delay_alu instid0(VALU_DEP_1) | instskip(NEXT) | instid1(VALU_DEP_1)
	v_lshlrev_b64_e32 v[28:29], 4, v[28:29]
	v_add_co_u32 v48, s0, s4, v28
	s_wait_alu 0xf1ff
	s_delay_alu instid0(VALU_DEP_2)
	v_add_co_ci_u32_e64 v49, s0, s5, v29, s0
	s_clause 0x5
	global_load_b128 v[28:31], v[48:49], off offset:2288
	global_load_b128 v[32:35], v[48:49], off offset:2336
	;; [unrolled: 1-line block ×6, first 2 shown]
	s_wait_loadcnt 0x5
	v_mul_f64_e32 v[52:53], v[8:9], v[30:31]
	s_wait_loadcnt 0x4
	v_mul_f64_e32 v[54:55], v[20:21], v[34:35]
	;; [unrolled: 2-line block ×4, first 2 shown]
	v_mul_f64_e32 v[30:31], v[10:11], v[30:31]
	v_mul_f64_e32 v[34:35], v[22:23], v[34:35]
	;; [unrolled: 1-line block ×4, first 2 shown]
	s_wait_loadcnt 0x1
	v_mul_f64_e32 v[60:61], v[18:19], v[46:47]
	s_wait_loadcnt 0x0
	v_mul_f64_e32 v[62:63], v[14:15], v[50:51]
	v_mul_f64_e32 v[50:51], v[12:13], v[50:51]
	;; [unrolled: 1-line block ×3, first 2 shown]
	v_fma_f64 v[10:11], v[10:11], v[28:29], v[52:53]
	v_fma_f64 v[22:23], v[22:23], v[32:33], v[54:55]
	;; [unrolled: 1-line block ×4, first 2 shown]
	v_fma_f64 v[8:9], v[8:9], v[28:29], -v[30:31]
	v_fma_f64 v[20:21], v[20:21], v[32:33], -v[34:35]
	;; [unrolled: 1-line block ×6, first 2 shown]
	v_fma_f64 v[14:15], v[14:15], v[48:49], v[50:51]
	v_fma_f64 v[18:19], v[18:19], v[44:45], v[46:47]
	v_add_f64_e32 v[28:29], v[10:11], v[22:23]
	v_add_f64_e64 v[10:11], v[10:11], -v[22:23]
	v_add_f64_e32 v[30:31], v[6:7], v[26:27]
	v_add_f64_e64 v[6:7], v[6:7], -v[26:27]
	;; [unrolled: 2-line block ×4, first 2 shown]
	v_add_f64_e64 v[36:37], v[16:17], -v[12:13]
	v_add_f64_e32 v[12:13], v[12:13], v[16:17]
	v_add_f64_e32 v[20:21], v[14:15], v[18:19]
	v_add_f64_e64 v[14:15], v[18:19], -v[14:15]
	v_add_f64_e32 v[16:17], v[28:29], v[30:31]
	v_add_f64_e64 v[42:43], v[10:11], -v[6:7]
	;; [unrolled: 2-line block ×3, first 2 shown]
	v_add_f64_e64 v[22:23], v[36:37], -v[8:9]
	v_add_f64_e64 v[26:27], v[34:35], -v[12:13]
	;; [unrolled: 1-line block ×4, first 2 shown]
	v_add_f64_e32 v[8:9], v[36:37], v[8:9]
	v_add_f64_e64 v[36:37], v[4:5], -v[36:37]
	v_add_f64_e32 v[10:11], v[14:15], v[10:11]
	v_add_f64_e64 v[14:15], v[6:7], -v[14:15]
	;; [unrolled: 2-line block ×3, first 2 shown]
	v_add_f64_e64 v[28:29], v[28:29], -v[30:31]
	v_mul_f64_e32 v[46:47], s[2:3], v[42:43]
	v_add_f64_e32 v[18:19], v[12:13], v[18:19]
	v_add_f64_e64 v[12:13], v[12:13], -v[32:33]
	v_mul_f64_e32 v[22:23], s[14:15], v[22:23]
	v_mul_f64_e32 v[26:27], s[10:11], v[26:27]
	;; [unrolled: 1-line block ×5, first 2 shown]
	v_add_f64_e64 v[32:33], v[32:33], -v[34:35]
	v_add_f64_e32 v[4:5], v[8:9], v[4:5]
	v_add_f64_e32 v[6:7], v[10:11], v[6:7]
	;; [unrolled: 1-line block ×3, first 2 shown]
	v_mul_f64_e32 v[30:31], s[6:7], v[20:21]
	v_add_f64_e32 v[0:1], v[0:1], v[18:19]
	v_mul_f64_e32 v[34:35], s[6:7], v[12:13]
	v_fma_f64 v[8:9], v[36:37], s[20:21], v[22:23]
	v_fma_f64 v[12:13], v[12:13], s[6:7], v[26:27]
	;; [unrolled: 1-line block ×3, first 2 shown]
	v_fma_f64 v[20:21], v[36:37], s[22:23], -v[44:45]
	v_fma_f64 v[22:23], v[38:39], s[2:3], -v[22:23]
	;; [unrolled: 1-line block ×5, first 2 shown]
	v_fma_f64 v[16:17], v[16:17], s[12:13], v[2:3]
	v_fma_f64 v[28:29], v[28:29], s[16:17], -v[30:31]
	v_fma_f64 v[30:31], v[14:15], s[20:21], v[40:41]
	v_fma_f64 v[14:15], v[14:15], s[22:23], -v[46:47]
	;; [unrolled: 2-line block ×3, first 2 shown]
	v_fma_f64 v[8:9], v[4:5], s[24:25], v[8:9]
	v_fma_f64 v[20:21], v[4:5], s[24:25], v[20:21]
	;; [unrolled: 1-line block ×4, first 2 shown]
	v_add_f64_e32 v[34:35], v[10:11], v[16:17]
	v_add_f64_e32 v[22:23], v[24:25], v[16:17]
	v_add_f64_e32 v[16:17], v[28:29], v[16:17]
	v_fma_f64 v[28:29], v[6:7], s[24:25], v[30:31]
	v_add_f64_e32 v[38:39], v[12:13], v[18:19]
	v_fma_f64 v[30:31], v[6:7], s[24:25], v[14:15]
	v_add_f64_e32 v[40:41], v[26:27], v[18:19]
	v_add_f64_e32 v[12:13], v[32:33], v[18:19]
	v_add_f64_e64 v[26:27], v[34:35], -v[8:9]
	v_add_f64_e32 v[10:11], v[20:21], v[22:23]
	v_add_f64_e64 v[22:23], v[22:23], -v[20:21]
	v_add_f64_e64 v[14:15], v[16:17], -v[4:5]
	v_add_f64_e32 v[24:25], v[28:29], v[38:39]
	v_add_f64_e32 v[18:19], v[4:5], v[16:17]
	;; [unrolled: 1-line block ×3, first 2 shown]
	v_add_f64_e64 v[16:17], v[12:13], -v[36:37]
	v_add_f64_e32 v[12:13], v[36:37], v[12:13]
	v_add_f64_e32 v[6:7], v[8:9], v[34:35]
	v_add_f64_e64 v[8:9], v[40:41], -v[30:31]
	v_add_f64_e64 v[4:5], v[38:39], -v[28:29]
	ds_store_b128 v99, v[0:3] offset:1792
	ds_store_b128 v99, v[24:27] offset:4096
	;; [unrolled: 1-line block ×7, first 2 shown]
.LBB0_17:
	s_wait_alu 0xfffe
	s_or_b32 exec_lo, exec_lo, s1
	global_wb scope:SCOPE_SE
	s_wait_dscnt 0x0
	s_barrier_signal -1
	s_barrier_wait -1
	global_inv scope:SCOPE_SE
	ds_load_b128 v[4:7], v99
	v_sub_nc_u32_e32 v12, 0, v85
	s_mov_b32 s1, exec_lo
                                        ; implicit-def: $vgpr0_vgpr1
                                        ; implicit-def: $vgpr8_vgpr9
                                        ; implicit-def: $vgpr10_vgpr11
	v_cmpx_ne_u32_e32 0, v84
	s_wait_alu 0xfffe
	s_xor_b32 s1, exec_lo, s1
	s_cbranch_execz .LBB0_19
; %bb.18:
	v_mov_b32_e32 v85, 0
	s_delay_alu instid0(VALU_DEP_1) | instskip(NEXT) | instid1(VALU_DEP_1)
	v_lshlrev_b64_e32 v[0:1], 4, v[84:85]
	v_add_co_u32 v0, s0, s4, v0
	s_wait_alu 0xf1ff
	s_delay_alu instid0(VALU_DEP_2)
	v_add_co_ci_u32_e64 v1, s0, s5, v1, s0
	global_load_b128 v[13:16], v[0:1], off offset:16096
	ds_load_b128 v[0:3], v12 offset:16128
	s_wait_dscnt 0x0
	v_add_f64_e64 v[8:9], v[4:5], -v[0:1]
	v_add_f64_e32 v[10:11], v[6:7], v[2:3]
	v_add_f64_e64 v[2:3], v[6:7], -v[2:3]
	v_add_f64_e32 v[0:1], v[4:5], v[0:1]
	s_delay_alu instid0(VALU_DEP_4) | instskip(NEXT) | instid1(VALU_DEP_4)
	v_mul_f64_e32 v[6:7], 0.5, v[8:9]
	v_mul_f64_e32 v[4:5], 0.5, v[10:11]
	s_delay_alu instid0(VALU_DEP_4) | instskip(SKIP_1) | instid1(VALU_DEP_3)
	v_mul_f64_e32 v[2:3], 0.5, v[2:3]
	s_wait_loadcnt 0x0
	v_mul_f64_e32 v[8:9], v[6:7], v[15:16]
	s_delay_alu instid0(VALU_DEP_2) | instskip(SKIP_1) | instid1(VALU_DEP_3)
	v_fma_f64 v[10:11], v[4:5], v[15:16], v[2:3]
	v_fma_f64 v[2:3], v[4:5], v[15:16], -v[2:3]
	v_fma_f64 v[17:18], v[0:1], 0.5, v[8:9]
	v_fma_f64 v[0:1], v[0:1], 0.5, -v[8:9]
	s_delay_alu instid0(VALU_DEP_4) | instskip(NEXT) | instid1(VALU_DEP_4)
	v_fma_f64 v[10:11], -v[13:14], v[6:7], v[10:11]
	v_fma_f64 v[2:3], -v[13:14], v[6:7], v[2:3]
	s_delay_alu instid0(VALU_DEP_4) | instskip(NEXT) | instid1(VALU_DEP_4)
	v_fma_f64 v[8:9], v[4:5], v[13:14], v[17:18]
	v_fma_f64 v[0:1], -v[4:5], v[13:14], v[0:1]
                                        ; implicit-def: $vgpr4_vgpr5
.LBB0_19:
	s_wait_alu 0xfffe
	s_or_saveexec_b32 s0, s1
	v_sub_nc_u32_e32 v18, 0, v87
	v_sub_nc_u32_e32 v17, 0, v107
	;; [unrolled: 1-line block ×6, first 2 shown]
	s_wait_alu 0xfffe
	s_xor_b32 exec_lo, exec_lo, s0
	s_cbranch_execz .LBB0_21
; %bb.20:
	s_wait_dscnt 0x0
	v_add_f64_e32 v[8:9], v[4:5], v[6:7]
	v_add_f64_e64 v[0:1], v[4:5], -v[6:7]
	v_mov_b32_e32 v6, 0
	v_mov_b32_e32 v10, 0
	;; [unrolled: 1-line block ×3, first 2 shown]
	s_delay_alu instid0(VALU_DEP_2)
	v_mov_b32_e32 v2, v10
	ds_load_b64 v[4:5], v6 offset:8072
	v_mov_b32_e32 v3, v11
	s_wait_dscnt 0x0
	v_xor_b32_e32 v5, 0x80000000, v5
	ds_store_b64 v6, v[4:5] offset:8072
.LBB0_21:
	s_or_b32 exec_lo, exec_lo, s0
	v_mov_b32_e32 v87, 0
	s_wait_dscnt 0x0
	s_delay_alu instid0(VALU_DEP_1) | instskip(SKIP_1) | instid1(VALU_DEP_1)
	v_lshlrev_b64_e32 v[4:5], 4, v[86:87]
	v_mov_b32_e32 v97, v87
	v_lshlrev_b64_e32 v[19:20], 4, v[96:97]
	v_mov_b32_e32 v96, v87
	s_delay_alu instid0(VALU_DEP_4) | instskip(SKIP_2) | instid1(VALU_DEP_4)
	v_add_co_u32 v4, s0, s4, v4
	s_wait_alu 0xf1ff
	v_add_co_ci_u32_e64 v5, s0, s5, v5, s0
	v_add_co_u32 v19, s0, s4, v19
	s_wait_alu 0xf1ff
	v_add_co_ci_u32_e64 v20, s0, s5, v20, s0
	s_clause 0x1
	global_load_b128 v[4:7], v[4:5], off offset:16096
	global_load_b128 v[19:22], v[19:20], off offset:16096
	ds_store_2addr_b64 v99, v[8:9], v[10:11] offset1:1
	ds_store_b128 v12, v[0:3] offset:16128
	ds_load_b128 v[0:3], v106
	ds_load_b128 v[8:11], v12 offset:15232
	s_wait_dscnt 0x0
	v_add_f64_e64 v[23:24], v[0:1], -v[8:9]
	v_add_f64_e32 v[25:26], v[2:3], v[10:11]
	v_add_f64_e64 v[2:3], v[2:3], -v[10:11]
	v_add_f64_e32 v[0:1], v[0:1], v[8:9]
	s_delay_alu instid0(VALU_DEP_4) | instskip(NEXT) | instid1(VALU_DEP_4)
	v_mul_f64_e32 v[10:11], 0.5, v[23:24]
	v_mul_f64_e32 v[23:24], 0.5, v[25:26]
	s_delay_alu instid0(VALU_DEP_4) | instskip(SKIP_1) | instid1(VALU_DEP_3)
	v_mul_f64_e32 v[2:3], 0.5, v[2:3]
	s_wait_loadcnt 0x1
	v_mul_f64_e32 v[8:9], v[10:11], v[6:7]
	s_delay_alu instid0(VALU_DEP_2) | instskip(SKIP_1) | instid1(VALU_DEP_3)
	v_fma_f64 v[25:26], v[23:24], v[6:7], v[2:3]
	v_fma_f64 v[2:3], v[23:24], v[6:7], -v[2:3]
	v_fma_f64 v[6:7], v[0:1], 0.5, v[8:9]
	v_fma_f64 v[0:1], v[0:1], 0.5, -v[8:9]
	s_delay_alu instid0(VALU_DEP_4) | instskip(NEXT) | instid1(VALU_DEP_4)
	v_fma_f64 v[8:9], -v[4:5], v[10:11], v[25:26]
	v_fma_f64 v[2:3], -v[4:5], v[10:11], v[2:3]
	s_delay_alu instid0(VALU_DEP_4) | instskip(NEXT) | instid1(VALU_DEP_4)
	v_fma_f64 v[10:11], v[23:24], v[4:5], v[6:7]
	v_fma_f64 v[0:1], -v[23:24], v[4:5], v[0:1]
	v_lshlrev_b64_e32 v[4:5], 4, v[95:96]
	s_delay_alu instid0(VALU_DEP_1) | instskip(SKIP_1) | instid1(VALU_DEP_2)
	v_add_co_u32 v4, s0, s4, v4
	s_wait_alu 0xf1ff
	v_add_co_ci_u32_e64 v5, s0, s5, v5, s0
	global_load_b128 v[4:7], v[4:5], off offset:16096
	ds_store_2addr_b64 v106, v[10:11], v[8:9] offset1:1
	ds_store_b128 v12, v[0:3] offset:15232
	ds_load_b128 v[0:3], v112
	ds_load_b128 v[8:11], v12 offset:14336
	s_wait_dscnt 0x0
	v_add_f64_e64 v[23:24], v[0:1], -v[8:9]
	v_add_f64_e32 v[25:26], v[2:3], v[10:11]
	v_add_f64_e64 v[2:3], v[2:3], -v[10:11]
	v_add_f64_e32 v[0:1], v[0:1], v[8:9]
	s_delay_alu instid0(VALU_DEP_4) | instskip(NEXT) | instid1(VALU_DEP_4)
	v_mul_f64_e32 v[10:11], 0.5, v[23:24]
	v_mul_f64_e32 v[23:24], 0.5, v[25:26]
	s_delay_alu instid0(VALU_DEP_4) | instskip(SKIP_1) | instid1(VALU_DEP_3)
	v_mul_f64_e32 v[2:3], 0.5, v[2:3]
	s_wait_loadcnt 0x1
	v_mul_f64_e32 v[8:9], v[10:11], v[21:22]
	s_delay_alu instid0(VALU_DEP_2) | instskip(SKIP_1) | instid1(VALU_DEP_3)
	v_fma_f64 v[25:26], v[23:24], v[21:22], v[2:3]
	v_fma_f64 v[2:3], v[23:24], v[21:22], -v[2:3]
	v_fma_f64 v[21:22], v[0:1], 0.5, v[8:9]
	v_fma_f64 v[0:1], v[0:1], 0.5, -v[8:9]
	s_delay_alu instid0(VALU_DEP_4) | instskip(NEXT) | instid1(VALU_DEP_4)
	v_fma_f64 v[8:9], -v[19:20], v[10:11], v[25:26]
	v_fma_f64 v[10:11], -v[19:20], v[10:11], v[2:3]
	v_add_nc_u32_e32 v26, v103, v18
	v_mov_b32_e32 v95, v87
	v_fma_f64 v[21:22], v[23:24], v[19:20], v[21:22]
	v_fma_f64 v[19:20], -v[23:24], v[19:20], v[0:1]
	s_delay_alu instid0(VALU_DEP_3) | instskip(SKIP_1) | instid1(VALU_DEP_2)
	v_lshlrev_b64_e32 v[0:1], 4, v[94:95]
	v_mov_b32_e32 v94, v87
	v_add_co_u32 v0, s0, s4, v0
	s_wait_alu 0xf1ff
	s_delay_alu instid0(VALU_DEP_3)
	v_add_co_ci_u32_e64 v1, s0, s5, v1, s0
	global_load_b128 v[0:3], v[0:1], off offset:16096
	ds_store_b64 v112, v[8:9] offset:8
	ds_store_b64 v12, v[10:11] offset:14344
	ds_store_b64 v112, v[21:22]
	ds_store_b64 v12, v[19:20] offset:14336
	ds_load_b128 v[8:11], v26
	ds_load_b128 v[18:21], v12 offset:13440
	s_wait_dscnt 0x0
	v_add_f64_e64 v[22:23], v[8:9], -v[18:19]
	v_add_f64_e32 v[24:25], v[10:11], v[20:21]
	v_add_f64_e64 v[10:11], v[10:11], -v[20:21]
	v_add_f64_e32 v[8:9], v[8:9], v[18:19]
	s_delay_alu instid0(VALU_DEP_4) | instskip(NEXT) | instid1(VALU_DEP_4)
	v_mul_f64_e32 v[20:21], 0.5, v[22:23]
	v_mul_f64_e32 v[22:23], 0.5, v[24:25]
	s_delay_alu instid0(VALU_DEP_4) | instskip(SKIP_1) | instid1(VALU_DEP_3)
	v_mul_f64_e32 v[10:11], 0.5, v[10:11]
	s_wait_loadcnt 0x1
	v_mul_f64_e32 v[18:19], v[20:21], v[6:7]
	s_delay_alu instid0(VALU_DEP_2) | instskip(SKIP_1) | instid1(VALU_DEP_3)
	v_fma_f64 v[24:25], v[22:23], v[6:7], v[10:11]
	v_fma_f64 v[6:7], v[22:23], v[6:7], -v[10:11]
	v_fma_f64 v[10:11], v[8:9], 0.5, v[18:19]
	v_fma_f64 v[8:9], v[8:9], 0.5, -v[18:19]
	s_delay_alu instid0(VALU_DEP_4) | instskip(NEXT) | instid1(VALU_DEP_4)
	v_fma_f64 v[18:19], -v[4:5], v[20:21], v[24:25]
	v_fma_f64 v[20:21], -v[4:5], v[20:21], v[6:7]
	v_add_nc_u32_e32 v25, v101, v17
	v_fma_f64 v[10:11], v[22:23], v[4:5], v[10:11]
	v_fma_f64 v[8:9], -v[22:23], v[4:5], v[8:9]
	v_lshlrev_b64_e32 v[4:5], 4, v[93:94]
	v_mov_b32_e32 v93, v87
	s_delay_alu instid0(VALU_DEP_2) | instskip(SKIP_1) | instid1(VALU_DEP_3)
	v_add_co_u32 v4, s0, s4, v4
	s_wait_alu 0xf1ff
	v_add_co_ci_u32_e64 v5, s0, s5, v5, s0
	global_load_b128 v[4:7], v[4:5], off offset:16096
	ds_store_b64 v26, v[18:19] offset:8
	ds_store_b64 v12, v[20:21] offset:13448
	ds_store_b64 v26, v[10:11]
	ds_store_b64 v12, v[8:9] offset:13440
	ds_load_b128 v[8:11], v25
	ds_load_b128 v[17:20], v12 offset:12544
	s_wait_dscnt 0x0
	v_add_f64_e64 v[21:22], v[8:9], -v[17:18]
	v_add_f64_e32 v[23:24], v[10:11], v[19:20]
	v_add_f64_e64 v[10:11], v[10:11], -v[19:20]
	v_add_f64_e32 v[8:9], v[8:9], v[17:18]
	s_delay_alu instid0(VALU_DEP_4) | instskip(NEXT) | instid1(VALU_DEP_4)
	v_mul_f64_e32 v[19:20], 0.5, v[21:22]
	v_mul_f64_e32 v[21:22], 0.5, v[23:24]
	s_delay_alu instid0(VALU_DEP_4) | instskip(SKIP_1) | instid1(VALU_DEP_3)
	v_mul_f64_e32 v[10:11], 0.5, v[10:11]
	s_wait_loadcnt 0x1
	v_mul_f64_e32 v[17:18], v[19:20], v[2:3]
	s_delay_alu instid0(VALU_DEP_2) | instskip(SKIP_1) | instid1(VALU_DEP_3)
	v_fma_f64 v[23:24], v[21:22], v[2:3], v[10:11]
	v_fma_f64 v[2:3], v[21:22], v[2:3], -v[10:11]
	v_fma_f64 v[10:11], v[8:9], 0.5, v[17:18]
	v_fma_f64 v[8:9], v[8:9], 0.5, -v[17:18]
	s_delay_alu instid0(VALU_DEP_4)
	v_fma_f64 v[17:18], -v[0:1], v[19:20], v[23:24]
	v_add_nc_u32_e32 v24, v105, v16
	v_fma_f64 v[19:20], -v[0:1], v[19:20], v[2:3]
	v_fma_f64 v[10:11], v[21:22], v[0:1], v[10:11]
	v_fma_f64 v[8:9], -v[21:22], v[0:1], v[8:9]
	v_lshlrev_b64_e32 v[0:1], 4, v[92:93]
	v_mov_b32_e32 v92, v87
	s_delay_alu instid0(VALU_DEP_2) | instskip(SKIP_1) | instid1(VALU_DEP_3)
	v_add_co_u32 v0, s0, s4, v0
	s_wait_alu 0xf1ff
	v_add_co_ci_u32_e64 v1, s0, s5, v1, s0
	global_load_b128 v[0:3], v[0:1], off offset:16096
	ds_store_b64 v25, v[17:18] offset:8
	ds_store_b64 v12, v[19:20] offset:12552
	ds_store_b64 v25, v[10:11]
	ds_store_b64 v12, v[8:9] offset:12544
	ds_load_b128 v[8:11], v24
	ds_load_b128 v[16:19], v12 offset:11648
	s_wait_dscnt 0x0
	v_add_f64_e64 v[20:21], v[8:9], -v[16:17]
	v_add_f64_e32 v[22:23], v[10:11], v[18:19]
	v_add_f64_e64 v[10:11], v[10:11], -v[18:19]
	v_add_f64_e32 v[8:9], v[8:9], v[16:17]
	s_delay_alu instid0(VALU_DEP_4) | instskip(NEXT) | instid1(VALU_DEP_4)
	v_mul_f64_e32 v[18:19], 0.5, v[20:21]
	v_mul_f64_e32 v[20:21], 0.5, v[22:23]
	s_delay_alu instid0(VALU_DEP_4) | instskip(SKIP_1) | instid1(VALU_DEP_3)
	v_mul_f64_e32 v[10:11], 0.5, v[10:11]
	s_wait_loadcnt 0x1
	v_mul_f64_e32 v[16:17], v[18:19], v[6:7]
	s_delay_alu instid0(VALU_DEP_2) | instskip(SKIP_1) | instid1(VALU_DEP_3)
	v_fma_f64 v[22:23], v[20:21], v[6:7], v[10:11]
	v_fma_f64 v[6:7], v[20:21], v[6:7], -v[10:11]
	v_fma_f64 v[10:11], v[8:9], 0.5, v[16:17]
	v_fma_f64 v[8:9], v[8:9], 0.5, -v[16:17]
	s_delay_alu instid0(VALU_DEP_4) | instskip(NEXT) | instid1(VALU_DEP_4)
	v_fma_f64 v[16:17], -v[4:5], v[18:19], v[22:23]
	v_fma_f64 v[18:19], -v[4:5], v[18:19], v[6:7]
	v_add_nc_u32_e32 v23, v104, v15
	v_fma_f64 v[10:11], v[20:21], v[4:5], v[10:11]
	v_fma_f64 v[8:9], -v[20:21], v[4:5], v[8:9]
	v_lshlrev_b64_e32 v[4:5], 4, v[91:92]
	v_mov_b32_e32 v91, v87
	s_delay_alu instid0(VALU_DEP_2) | instskip(SKIP_1) | instid1(VALU_DEP_3)
	v_add_co_u32 v4, s0, s4, v4
	s_wait_alu 0xf1ff
	v_add_co_ci_u32_e64 v5, s0, s5, v5, s0
	global_load_b128 v[4:7], v[4:5], off offset:16096
	ds_store_b64 v24, v[16:17] offset:8
	ds_store_b64 v12, v[18:19] offset:11656
	ds_store_b64 v24, v[10:11]
	ds_store_b64 v12, v[8:9] offset:11648
	ds_load_b128 v[8:11], v23
	ds_load_b128 v[15:18], v12 offset:10752
	s_wait_dscnt 0x0
	v_add_f64_e64 v[19:20], v[8:9], -v[15:16]
	v_add_f64_e32 v[21:22], v[10:11], v[17:18]
	v_add_f64_e64 v[10:11], v[10:11], -v[17:18]
	v_add_f64_e32 v[8:9], v[8:9], v[15:16]
	s_delay_alu instid0(VALU_DEP_4) | instskip(NEXT) | instid1(VALU_DEP_4)
	v_mul_f64_e32 v[17:18], 0.5, v[19:20]
	v_mul_f64_e32 v[19:20], 0.5, v[21:22]
	s_delay_alu instid0(VALU_DEP_4) | instskip(SKIP_1) | instid1(VALU_DEP_3)
	v_mul_f64_e32 v[10:11], 0.5, v[10:11]
	s_wait_loadcnt 0x1
	v_mul_f64_e32 v[15:16], v[17:18], v[2:3]
	s_delay_alu instid0(VALU_DEP_2) | instskip(SKIP_1) | instid1(VALU_DEP_3)
	v_fma_f64 v[21:22], v[19:20], v[2:3], v[10:11]
	v_fma_f64 v[2:3], v[19:20], v[2:3], -v[10:11]
	v_fma_f64 v[10:11], v[8:9], 0.5, v[15:16]
	v_fma_f64 v[8:9], v[8:9], 0.5, -v[15:16]
	s_delay_alu instid0(VALU_DEP_4)
	v_fma_f64 v[15:16], -v[0:1], v[17:18], v[21:22]
	v_add_nc_u32_e32 v22, v102, v14
	v_fma_f64 v[17:18], -v[0:1], v[17:18], v[2:3]
	v_fma_f64 v[10:11], v[19:20], v[0:1], v[10:11]
	v_fma_f64 v[8:9], -v[19:20], v[0:1], v[8:9]
	v_lshlrev_b64_e32 v[0:1], 4, v[90:91]
	s_delay_alu instid0(VALU_DEP_1) | instskip(SKIP_1) | instid1(VALU_DEP_2)
	v_add_co_u32 v0, s0, s4, v0
	s_wait_alu 0xf1ff
	v_add_co_ci_u32_e64 v1, s0, s5, v1, s0
	global_load_b128 v[0:3], v[0:1], off offset:16096
	ds_store_b64 v23, v[15:16] offset:8
	ds_store_b64 v12, v[17:18] offset:10760
	ds_store_b64 v23, v[10:11]
	ds_store_b64 v12, v[8:9] offset:10752
	ds_load_b128 v[8:11], v22
	ds_load_b128 v[14:17], v12 offset:9856
	s_wait_dscnt 0x0
	v_add_f64_e64 v[18:19], v[8:9], -v[14:15]
	v_add_f64_e32 v[20:21], v[10:11], v[16:17]
	v_add_f64_e64 v[10:11], v[10:11], -v[16:17]
	v_add_f64_e32 v[8:9], v[8:9], v[14:15]
	s_delay_alu instid0(VALU_DEP_4) | instskip(NEXT) | instid1(VALU_DEP_4)
	v_mul_f64_e32 v[16:17], 0.5, v[18:19]
	v_mul_f64_e32 v[18:19], 0.5, v[20:21]
	s_delay_alu instid0(VALU_DEP_4) | instskip(SKIP_1) | instid1(VALU_DEP_3)
	v_mul_f64_e32 v[10:11], 0.5, v[10:11]
	s_wait_loadcnt 0x1
	v_mul_f64_e32 v[14:15], v[16:17], v[6:7]
	s_delay_alu instid0(VALU_DEP_2) | instskip(SKIP_1) | instid1(VALU_DEP_3)
	v_fma_f64 v[20:21], v[18:19], v[6:7], v[10:11]
	v_fma_f64 v[6:7], v[18:19], v[6:7], -v[10:11]
	v_fma_f64 v[10:11], v[8:9], 0.5, v[14:15]
	v_fma_f64 v[8:9], v[8:9], 0.5, -v[14:15]
	s_delay_alu instid0(VALU_DEP_4) | instskip(NEXT) | instid1(VALU_DEP_4)
	v_fma_f64 v[14:15], -v[4:5], v[16:17], v[20:21]
	v_fma_f64 v[6:7], -v[4:5], v[16:17], v[6:7]
	v_add_nc_u32_e32 v17, v100, v13
	v_fma_f64 v[10:11], v[18:19], v[4:5], v[10:11]
	v_fma_f64 v[4:5], -v[18:19], v[4:5], v[8:9]
	ds_store_b64 v22, v[14:15] offset:8
	ds_store_b64 v12, v[6:7] offset:9864
	ds_store_b64 v22, v[10:11]
	ds_store_b64 v12, v[4:5] offset:9856
	ds_load_b128 v[4:7], v17
	ds_load_b128 v[8:11], v12 offset:8960
	s_wait_dscnt 0x0
	v_add_f64_e64 v[13:14], v[4:5], -v[8:9]
	v_add_f64_e32 v[15:16], v[6:7], v[10:11]
	v_add_f64_e64 v[6:7], v[6:7], -v[10:11]
	v_add_f64_e32 v[4:5], v[4:5], v[8:9]
	s_delay_alu instid0(VALU_DEP_4) | instskip(NEXT) | instid1(VALU_DEP_4)
	v_mul_f64_e32 v[10:11], 0.5, v[13:14]
	v_mul_f64_e32 v[13:14], 0.5, v[15:16]
	s_delay_alu instid0(VALU_DEP_4) | instskip(SKIP_1) | instid1(VALU_DEP_3)
	v_mul_f64_e32 v[6:7], 0.5, v[6:7]
	s_wait_loadcnt 0x0
	v_mul_f64_e32 v[8:9], v[10:11], v[2:3]
	s_delay_alu instid0(VALU_DEP_2) | instskip(SKIP_1) | instid1(VALU_DEP_3)
	v_fma_f64 v[15:16], v[13:14], v[2:3], v[6:7]
	v_fma_f64 v[2:3], v[13:14], v[2:3], -v[6:7]
	v_fma_f64 v[6:7], v[4:5], 0.5, v[8:9]
	v_fma_f64 v[4:5], v[4:5], 0.5, -v[8:9]
	s_delay_alu instid0(VALU_DEP_4) | instskip(NEXT) | instid1(VALU_DEP_4)
	v_fma_f64 v[8:9], -v[0:1], v[10:11], v[15:16]
	v_fma_f64 v[2:3], -v[0:1], v[10:11], v[2:3]
	s_delay_alu instid0(VALU_DEP_4) | instskip(NEXT) | instid1(VALU_DEP_4)
	v_fma_f64 v[6:7], v[13:14], v[0:1], v[6:7]
	v_fma_f64 v[0:1], -v[13:14], v[0:1], v[4:5]
	ds_store_b64 v17, v[8:9] offset:8
	ds_store_b64 v12, v[2:3] offset:8968
	ds_store_b64 v17, v[6:7]
	ds_store_b64 v12, v[0:1] offset:8960
	global_wb scope:SCOPE_SE
	s_wait_dscnt 0x0
	s_barrier_signal -1
	s_barrier_wait -1
	global_inv scope:SCOPE_SE
	s_and_saveexec_b32 s0, vcc_lo
	s_cbranch_execz .LBB0_24
; %bb.22:
	v_mov_b32_e32 v85, v87
	v_add_co_u32 v0, vcc_lo, s8, v88
	s_wait_alu 0xfffd
	v_add_co_ci_u32_e32 v1, vcc_lo, s9, v89, vcc_lo
	s_delay_alu instid0(VALU_DEP_3)
	v_lshlrev_b64_e32 v[58:59], 4, v[84:85]
	ds_load_b128 v[2:5], v99
	ds_load_b128 v[6:9], v99 offset:896
	ds_load_b128 v[10:13], v99 offset:1792
	;; [unrolled: 1-line block ×13, first 2 shown]
	v_add_co_u32 v74, vcc_lo, v0, v58
	s_wait_alu 0xfffd
	v_add_co_ci_u32_e32 v75, vcc_lo, v1, v59, vcc_lo
	ds_load_b128 v[58:61], v99 offset:12544
	ds_load_b128 v[62:65], v99 offset:13440
	ds_load_b128 v[66:69], v99 offset:14336
	ds_load_b128 v[70:73], v99 offset:15232
	v_cmp_eq_u32_e32 vcc_lo, 55, v84
	s_wait_dscnt 0x11
	global_store_b128 v[74:75], v[2:5], off
	s_wait_dscnt 0x10
	global_store_b128 v[74:75], v[6:9], off offset:896
	s_wait_dscnt 0xf
	global_store_b128 v[74:75], v[10:13], off offset:1792
	s_wait_dscnt 0xe
	global_store_b128 v[74:75], v[14:17], off offset:2688
	s_wait_dscnt 0xd
	global_store_b128 v[74:75], v[18:21], off offset:3584
	s_wait_dscnt 0xc
	global_store_b128 v[74:75], v[22:25], off offset:4480
	s_wait_dscnt 0xb
	global_store_b128 v[74:75], v[26:29], off offset:5376
	s_wait_dscnt 0xa
	global_store_b128 v[74:75], v[30:33], off offset:6272
	s_wait_dscnt 0x9
	global_store_b128 v[74:75], v[34:37], off offset:7168
	s_wait_dscnt 0x8
	global_store_b128 v[74:75], v[38:41], off offset:8064
	s_wait_dscnt 0x7
	global_store_b128 v[74:75], v[42:45], off offset:8960
	s_wait_dscnt 0x6
	global_store_b128 v[74:75], v[46:49], off offset:9856
	s_wait_dscnt 0x5
	global_store_b128 v[74:75], v[50:53], off offset:10752
	s_wait_dscnt 0x4
	global_store_b128 v[74:75], v[54:57], off offset:11648
	s_wait_dscnt 0x3
	global_store_b128 v[74:75], v[58:61], off offset:12544
	s_wait_dscnt 0x2
	global_store_b128 v[74:75], v[62:65], off offset:13440
	s_wait_dscnt 0x1
	global_store_b128 v[74:75], v[66:69], off offset:14336
	s_wait_dscnt 0x0
	global_store_b128 v[74:75], v[70:73], off offset:15232
	s_and_b32 exec_lo, exec_lo, vcc_lo
	s_cbranch_execz .LBB0_24
; %bb.23:
	v_mov_b32_e32 v2, 0
	ds_load_b128 v[2:5], v2 offset:16128
	s_wait_dscnt 0x0
	global_store_b128 v[0:1], v[2:5], off offset:16128
.LBB0_24:
	s_nop 0
	s_sendmsg sendmsg(MSG_DEALLOC_VGPRS)
	s_endpgm
	.section	.rodata,"a",@progbits
	.p2align	6, 0x0
	.amdhsa_kernel fft_rtc_fwd_len1008_factors_2_2_2_2_3_3_7_wgs_56_tpt_56_halfLds_dp_ip_CI_unitstride_sbrr_R2C_dirReg
		.amdhsa_group_segment_fixed_size 0
		.amdhsa_private_segment_fixed_size 0
		.amdhsa_kernarg_size 88
		.amdhsa_user_sgpr_count 2
		.amdhsa_user_sgpr_dispatch_ptr 0
		.amdhsa_user_sgpr_queue_ptr 0
		.amdhsa_user_sgpr_kernarg_segment_ptr 1
		.amdhsa_user_sgpr_dispatch_id 0
		.amdhsa_user_sgpr_private_segment_size 0
		.amdhsa_wavefront_size32 1
		.amdhsa_uses_dynamic_stack 0
		.amdhsa_enable_private_segment 0
		.amdhsa_system_sgpr_workgroup_id_x 1
		.amdhsa_system_sgpr_workgroup_id_y 0
		.amdhsa_system_sgpr_workgroup_id_z 0
		.amdhsa_system_sgpr_workgroup_info 0
		.amdhsa_system_vgpr_workitem_id 0
		.amdhsa_next_free_vgpr 179
		.amdhsa_next_free_sgpr 32
		.amdhsa_reserve_vcc 1
		.amdhsa_float_round_mode_32 0
		.amdhsa_float_round_mode_16_64 0
		.amdhsa_float_denorm_mode_32 3
		.amdhsa_float_denorm_mode_16_64 3
		.amdhsa_fp16_overflow 0
		.amdhsa_workgroup_processor_mode 1
		.amdhsa_memory_ordered 1
		.amdhsa_forward_progress 0
		.amdhsa_round_robin_scheduling 0
		.amdhsa_exception_fp_ieee_invalid_op 0
		.amdhsa_exception_fp_denorm_src 0
		.amdhsa_exception_fp_ieee_div_zero 0
		.amdhsa_exception_fp_ieee_overflow 0
		.amdhsa_exception_fp_ieee_underflow 0
		.amdhsa_exception_fp_ieee_inexact 0
		.amdhsa_exception_int_div_zero 0
	.end_amdhsa_kernel
	.text
.Lfunc_end0:
	.size	fft_rtc_fwd_len1008_factors_2_2_2_2_3_3_7_wgs_56_tpt_56_halfLds_dp_ip_CI_unitstride_sbrr_R2C_dirReg, .Lfunc_end0-fft_rtc_fwd_len1008_factors_2_2_2_2_3_3_7_wgs_56_tpt_56_halfLds_dp_ip_CI_unitstride_sbrr_R2C_dirReg
                                        ; -- End function
	.section	.AMDGPU.csdata,"",@progbits
; Kernel info:
; codeLenInByte = 15168
; NumSgprs: 34
; NumVgprs: 179
; ScratchSize: 0
; MemoryBound: 0
; FloatMode: 240
; IeeeMode: 1
; LDSByteSize: 0 bytes/workgroup (compile time only)
; SGPRBlocks: 4
; VGPRBlocks: 22
; NumSGPRsForWavesPerEU: 34
; NumVGPRsForWavesPerEU: 179
; Occupancy: 8
; WaveLimiterHint : 1
; COMPUTE_PGM_RSRC2:SCRATCH_EN: 0
; COMPUTE_PGM_RSRC2:USER_SGPR: 2
; COMPUTE_PGM_RSRC2:TRAP_HANDLER: 0
; COMPUTE_PGM_RSRC2:TGID_X_EN: 1
; COMPUTE_PGM_RSRC2:TGID_Y_EN: 0
; COMPUTE_PGM_RSRC2:TGID_Z_EN: 0
; COMPUTE_PGM_RSRC2:TIDIG_COMP_CNT: 0
	.text
	.p2alignl 7, 3214868480
	.fill 96, 4, 3214868480
	.type	__hip_cuid_e6c0a48529a1dee2,@object ; @__hip_cuid_e6c0a48529a1dee2
	.section	.bss,"aw",@nobits
	.globl	__hip_cuid_e6c0a48529a1dee2
__hip_cuid_e6c0a48529a1dee2:
	.byte	0                               ; 0x0
	.size	__hip_cuid_e6c0a48529a1dee2, 1

	.ident	"AMD clang version 19.0.0git (https://github.com/RadeonOpenCompute/llvm-project roc-6.4.0 25133 c7fe45cf4b819c5991fe208aaa96edf142730f1d)"
	.section	".note.GNU-stack","",@progbits
	.addrsig
	.addrsig_sym __hip_cuid_e6c0a48529a1dee2
	.amdgpu_metadata
---
amdhsa.kernels:
  - .args:
      - .actual_access:  read_only
        .address_space:  global
        .offset:         0
        .size:           8
        .value_kind:     global_buffer
      - .offset:         8
        .size:           8
        .value_kind:     by_value
      - .actual_access:  read_only
        .address_space:  global
        .offset:         16
        .size:           8
        .value_kind:     global_buffer
      - .actual_access:  read_only
        .address_space:  global
        .offset:         24
        .size:           8
        .value_kind:     global_buffer
      - .offset:         32
        .size:           8
        .value_kind:     by_value
      - .actual_access:  read_only
        .address_space:  global
        .offset:         40
        .size:           8
        .value_kind:     global_buffer
      - .actual_access:  read_only
        .address_space:  global
        .offset:         48
        .size:           8
        .value_kind:     global_buffer
      - .offset:         56
        .size:           4
        .value_kind:     by_value
      - .actual_access:  read_only
        .address_space:  global
        .offset:         64
        .size:           8
        .value_kind:     global_buffer
      - .actual_access:  read_only
        .address_space:  global
        .offset:         72
        .size:           8
        .value_kind:     global_buffer
      - .address_space:  global
        .offset:         80
        .size:           8
        .value_kind:     global_buffer
    .group_segment_fixed_size: 0
    .kernarg_segment_align: 8
    .kernarg_segment_size: 88
    .language:       OpenCL C
    .language_version:
      - 2
      - 0
    .max_flat_workgroup_size: 56
    .name:           fft_rtc_fwd_len1008_factors_2_2_2_2_3_3_7_wgs_56_tpt_56_halfLds_dp_ip_CI_unitstride_sbrr_R2C_dirReg
    .private_segment_fixed_size: 0
    .sgpr_count:     34
    .sgpr_spill_count: 0
    .symbol:         fft_rtc_fwd_len1008_factors_2_2_2_2_3_3_7_wgs_56_tpt_56_halfLds_dp_ip_CI_unitstride_sbrr_R2C_dirReg.kd
    .uniform_work_group_size: 1
    .uses_dynamic_stack: false
    .vgpr_count:     179
    .vgpr_spill_count: 0
    .wavefront_size: 32
    .workgroup_processor_mode: 1
amdhsa.target:   amdgcn-amd-amdhsa--gfx1201
amdhsa.version:
  - 1
  - 2
...

	.end_amdgpu_metadata
